;; amdgpu-corpus repo=pytorch/pytorch kind=compiled arch=gfx90a opt=O3
	.text
	.amdgcn_target "amdgcn-amd-amdhsa--gfx90a"
	.amdhsa_code_object_version 6
	.section	.text._ZN2at4cuda17kernelHistogram1DIfhlLi1ELi2ELin1ELNS0_23CUDAHistogramMemoryTypeE0EZNS0_21CUDA_tensor_histogramIfhLb1EEEbNS_6TensorES4_S4_lNS_14AccumulateTypeIT0_Lb1EE4typeES8_NS0_13TensorArgTypeES9_S9_EUllE_EEvNS0_6detail10TensorInfoIT_T1_EESF_NSC_IKS6_SE_EElS8_S8_SE_T6_,"axG",@progbits,_ZN2at4cuda17kernelHistogram1DIfhlLi1ELi2ELin1ELNS0_23CUDAHistogramMemoryTypeE0EZNS0_21CUDA_tensor_histogramIfhLb1EEEbNS_6TensorES4_S4_lNS_14AccumulateTypeIT0_Lb1EE4typeES8_NS0_13TensorArgTypeES9_S9_EUllE_EEvNS0_6detail10TensorInfoIT_T1_EESF_NSC_IKS6_SE_EElS8_S8_SE_T6_,comdat
	.protected	_ZN2at4cuda17kernelHistogram1DIfhlLi1ELi2ELin1ELNS0_23CUDAHistogramMemoryTypeE0EZNS0_21CUDA_tensor_histogramIfhLb1EEEbNS_6TensorES4_S4_lNS_14AccumulateTypeIT0_Lb1EE4typeES8_NS0_13TensorArgTypeES9_S9_EUllE_EEvNS0_6detail10TensorInfoIT_T1_EESF_NSC_IKS6_SE_EElS8_S8_SE_T6_ ; -- Begin function _ZN2at4cuda17kernelHistogram1DIfhlLi1ELi2ELin1ELNS0_23CUDAHistogramMemoryTypeE0EZNS0_21CUDA_tensor_histogramIfhLb1EEEbNS_6TensorES4_S4_lNS_14AccumulateTypeIT0_Lb1EE4typeES8_NS0_13TensorArgTypeES9_S9_EUllE_EEvNS0_6detail10TensorInfoIT_T1_EESF_NSC_IKS6_SE_EElS8_S8_SE_T6_
	.globl	_ZN2at4cuda17kernelHistogram1DIfhlLi1ELi2ELin1ELNS0_23CUDAHistogramMemoryTypeE0EZNS0_21CUDA_tensor_histogramIfhLb1EEEbNS_6TensorES4_S4_lNS_14AccumulateTypeIT0_Lb1EE4typeES8_NS0_13TensorArgTypeES9_S9_EUllE_EEvNS0_6detail10TensorInfoIT_T1_EESF_NSC_IKS6_SE_EElS8_S8_SE_T6_
	.p2align	8
	.type	_ZN2at4cuda17kernelHistogram1DIfhlLi1ELi2ELin1ELNS0_23CUDAHistogramMemoryTypeE0EZNS0_21CUDA_tensor_histogramIfhLb1EEEbNS_6TensorES4_S4_lNS_14AccumulateTypeIT0_Lb1EE4typeES8_NS0_13TensorArgTypeES9_S9_EUllE_EEvNS0_6detail10TensorInfoIT_T1_EESF_NSC_IKS6_SE_EElS8_S8_SE_T6_,@function
_ZN2at4cuda17kernelHistogram1DIfhlLi1ELi2ELin1ELNS0_23CUDAHistogramMemoryTypeE0EZNS0_21CUDA_tensor_histogramIfhLb1EEEbNS_6TensorES4_S4_lNS_14AccumulateTypeIT0_Lb1EE4typeES8_NS0_13TensorArgTypeES9_S9_EUllE_EEvNS0_6detail10TensorInfoIT_T1_EESF_NSC_IKS6_SE_EElS8_S8_SE_T6_: ; @_ZN2at4cuda17kernelHistogram1DIfhlLi1ELi2ELin1ELNS0_23CUDAHistogramMemoryTypeE0EZNS0_21CUDA_tensor_histogramIfhLb1EEEbNS_6TensorES4_S4_lNS_14AccumulateTypeIT0_Lb1EE4typeES8_NS0_13TensorArgTypeES9_S9_EUllE_EEvNS0_6detail10TensorInfoIT_T1_EESF_NSC_IKS6_SE_EElS8_S8_SE_T6_
; %bb.0:
	s_load_dwordx4 s[16:19], s[4:5], 0x0
	s_load_dwordx2 s[22:23], s[4:5], 0x500
	s_load_dwordx8 s[8:15], s[4:5], 0x4e0
	v_mov_b32_e32 v1, 0
	s_add_u32 s26, s4, 0x6a0
	s_waitcnt lgkmcnt(0)
	v_cmp_gt_i64_e64 s[0:1], s[18:19], v[0:1]
	v_cmp_le_i64_e32 vcc, s[18:19], v[0:1]
	s_addc_u32 s27, s5, 0
                                        ; implicit-def: $sgpr7
	s_and_saveexec_b64 s[2:3], vcc
	s_xor_b64 s[2:3], exec, s[2:3]
	s_cbranch_execz .LBB0_2
; %bb.1:
	s_load_dword s7, s[26:27], 0xc
.LBB0_2:
	s_or_saveexec_b64 s[28:29], s[2:3]
	s_load_dwordx2 s[20:21], s[4:5], 0xd0
	s_load_dwordx2 s[24:25], s[4:5], 0x5d0
	s_waitcnt lgkmcnt(0)
	v_mov_b32_e32 v4, s7
	s_xor_b64 exec, exec, s[28:29]
	s_cbranch_execz .LBB0_16
; %bb.3:
	s_load_dword s7, s[26:27], 0xc
	v_mov_b32_e32 v2, s19
	s_mov_b32 s34, 0
	s_waitcnt lgkmcnt(0)
	s_and_b32 s33, s7, 0xffff
	v_add_co_u32_e32 v4, vcc, s33, v0
	v_addc_co_u32_e64 v5, s[2:3], 0, 0, vcc
	v_cmp_gt_i64_e32 vcc, s[18:19], v[4:5]
	v_cndmask_b32_e32 v6, v5, v2, vcc
	v_mov_b32_e32 v2, s18
	v_cndmask_b32_e32 v3, v4, v2, vcc
	v_cndmask_b32_e64 v2, 0, 1, vcc
	v_add_co_u32_e32 v4, vcc, v4, v2
	v_addc_co_u32_e32 v5, vcc, 0, v5, vcc
	v_sub_co_u32_e32 v3, vcc, v3, v4
	v_subb_co_u32_e32 v5, vcc, v6, v5, vcc
	v_mov_b32_e32 v4, 0
	v_cmp_ne_u64_e32 vcc, 0, v[4:5]
                                        ; implicit-def: $vgpr6_vgpr7
	s_and_saveexec_b64 s[2:3], vcc
	s_xor_b64 s[30:31], exec, s[2:3]
	s_cbranch_execz .LBB0_5
; %bb.4:
	v_cvt_f32_u32_e32 v4, s33
	v_mov_b32_e32 v6, 0x4f800000
	s_sub_u32 s2, 0, s33
	s_subb_u32 s3, 0, 0
	v_mac_f32_e32 v4, 0, v6
	v_rcp_f32_e32 v4, v4
	v_mul_f32_e32 v4, 0x5f7ffffc, v4
	v_mul_f32_e32 v6, 0x2f800000, v4
	v_trunc_f32_e32 v6, v6
	v_madmk_f32 v4, v6, 0xcf800000, v4
	v_cvt_u32_f32_e32 v6, v6
	v_cvt_u32_f32_e32 v4, v4
	v_mul_lo_u32 v7, s2, v6
	v_mul_hi_u32 v9, s2, v4
	v_mul_lo_u32 v8, s3, v4
	v_add_u32_e32 v7, v9, v7
	v_mul_lo_u32 v10, s2, v4
	v_add_u32_e32 v7, v7, v8
	v_mul_hi_u32 v9, v4, v10
	v_mul_lo_u32 v11, v4, v7
	v_mul_hi_u32 v8, v4, v7
	v_add_co_u32_e32 v9, vcc, v9, v11
	v_addc_co_u32_e32 v8, vcc, 0, v8, vcc
	v_mul_hi_u32 v12, v6, v10
	v_mul_lo_u32 v10, v6, v10
	v_add_co_u32_e32 v9, vcc, v9, v10
	v_mul_hi_u32 v11, v6, v7
	v_addc_co_u32_e32 v8, vcc, v8, v12, vcc
	v_addc_co_u32_e32 v9, vcc, 0, v11, vcc
	v_mul_lo_u32 v7, v6, v7
	v_add_co_u32_e32 v7, vcc, v8, v7
	v_addc_co_u32_e32 v8, vcc, 0, v9, vcc
	v_add_co_u32_e32 v4, vcc, v4, v7
	v_addc_co_u32_e32 v6, vcc, v6, v8, vcc
	v_mul_lo_u32 v7, s2, v6
	v_mul_hi_u32 v8, s2, v4
	v_add_u32_e32 v7, v8, v7
	v_mul_lo_u32 v8, s3, v4
	v_add_u32_e32 v7, v7, v8
	v_mul_lo_u32 v9, s2, v4
	v_mul_hi_u32 v10, v6, v9
	v_mul_lo_u32 v11, v6, v9
	v_mul_lo_u32 v13, v4, v7
	v_mul_hi_u32 v9, v4, v9
	v_mul_hi_u32 v12, v4, v7
	v_add_co_u32_e32 v9, vcc, v9, v13
	v_addc_co_u32_e32 v12, vcc, 0, v12, vcc
	v_add_co_u32_e32 v9, vcc, v9, v11
	v_mul_hi_u32 v8, v6, v7
	v_addc_co_u32_e32 v9, vcc, v12, v10, vcc
	v_addc_co_u32_e32 v8, vcc, 0, v8, vcc
	v_mul_lo_u32 v7, v6, v7
	v_add_co_u32_e32 v7, vcc, v9, v7
	v_addc_co_u32_e32 v8, vcc, 0, v8, vcc
	v_add_co_u32_e32 v4, vcc, v4, v7
	v_addc_co_u32_e32 v8, vcc, v6, v8, vcc
	v_mad_u64_u32 v[6:7], s[2:3], v3, v8, 0
	v_mul_hi_u32 v9, v3, v4
	v_add_co_u32_e32 v10, vcc, v9, v6
	v_addc_co_u32_e32 v11, vcc, 0, v7, vcc
	v_mad_u64_u32 v[6:7], s[2:3], v5, v8, 0
	v_mad_u64_u32 v[8:9], s[2:3], v5, v4, 0
	v_add_co_u32_e32 v4, vcc, v10, v8
	v_addc_co_u32_e32 v4, vcc, v11, v9, vcc
	v_addc_co_u32_e32 v7, vcc, 0, v7, vcc
	v_add_co_u32_e32 v10, vcc, v4, v6
	v_addc_co_u32_e32 v11, vcc, 0, v7, vcc
	v_mad_u64_u32 v[6:7], s[2:3], s33, v10, 0
	v_mov_b32_e32 v4, v7
	v_mad_u64_u32 v[8:9], s[2:3], s33, v11, v[4:5]
	v_sub_co_u32_e32 v3, vcc, v3, v6
	v_subb_co_u32_e32 v4, vcc, v5, v8, vcc
	v_subrev_co_u32_e32 v5, vcc, s33, v3
	v_subbrev_co_u32_e32 v6, vcc, 0, v4, vcc
	v_cmp_le_u32_e32 vcc, s33, v5
	v_cndmask_b32_e64 v5, 0, -1, vcc
	v_cmp_eq_u32_e32 vcc, 0, v6
	v_cndmask_b32_e32 v5, -1, v5, vcc
	v_add_co_u32_e32 v6, vcc, 2, v10
	v_addc_co_u32_e32 v7, vcc, 0, v11, vcc
	v_add_co_u32_e32 v8, vcc, 1, v10
	v_cmp_le_u32_e64 s[2:3], s33, v3
	v_addc_co_u32_e32 v9, vcc, 0, v11, vcc
	v_cndmask_b32_e64 v3, 0, -1, s[2:3]
	v_cmp_eq_u32_e64 s[2:3], 0, v4
	v_cmp_ne_u32_e32 vcc, 0, v5
	v_cndmask_b32_e64 v3, -1, v3, s[2:3]
	v_cndmask_b32_e32 v5, v9, v7, vcc
	v_cmp_ne_u32_e64 s[2:3], 0, v3
	v_cndmask_b32_e32 v3, v8, v6, vcc
	v_cndmask_b32_e64 v7, v11, v5, s[2:3]
	v_cndmask_b32_e64 v6, v10, v3, s[2:3]
                                        ; implicit-def: $vgpr3
.LBB0_5:
	s_andn2_saveexec_b64 s[2:3], s[30:31]
	s_cbranch_execz .LBB0_7
; %bb.6:
	v_cvt_f32_u32_e32 v4, s33
	s_sub_i32 s30, 0, s33
	v_mov_b32_e32 v7, 0
	v_rcp_iflag_f32_e32 v4, v4
	v_mul_f32_e32 v4, 0x4f7ffffe, v4
	v_cvt_u32_f32_e32 v4, v4
	v_mul_lo_u32 v5, s30, v4
	v_mul_hi_u32 v5, v4, v5
	v_add_u32_e32 v4, v4, v5
	v_mul_hi_u32 v4, v3, v4
	v_mul_lo_u32 v5, v4, s33
	v_sub_u32_e32 v3, v3, v5
	v_add_u32_e32 v6, 1, v4
	v_subrev_u32_e32 v5, s33, v3
	v_cmp_le_u32_e32 vcc, s33, v3
	v_cndmask_b32_e32 v3, v3, v5, vcc
	v_cndmask_b32_e32 v4, v4, v6, vcc
	v_add_u32_e32 v5, 1, v4
	v_cmp_le_u32_e32 vcc, s33, v3
	v_cndmask_b32_e32 v6, v4, v5, vcc
.LBB0_7:
	s_or_b64 exec, exec, s[2:3]
	v_add_co_u32_e32 v2, vcc, v6, v2
	v_addc_co_u32_e32 v3, vcc, 0, v7, vcc
	v_add_co_u32_e32 v4, vcc, 1, v2
	v_addc_co_u32_e32 v5, vcc, 0, v3, vcc
	v_cmp_lt_u64_e32 vcc, 1, v[4:5]
	v_cmp_eq_u16_e64 s[2:3], s7, 1
	s_and_b64 s[36:37], vcc, s[2:3]
	s_mov_b64 s[30:31], -1
	v_pk_mov_b32 v[2:3], v[0:1], v[0:1] op_sel:[0,1]
                                        ; implicit-def: $sgpr35
	s_and_saveexec_b64 s[2:3], s[36:37]
	s_cbranch_execz .LBB0_11
; %bb.8:
	v_and_b32_e32 v6, -2, v4
	v_mov_b32_e32 v7, v5
	v_lshl_add_u32 v8, v0, 2, 0
	s_mov_b64 s[30:31], 0
	v_mov_b32_e32 v9, 0
	v_pk_mov_b32 v[2:3], v[6:7], v[6:7] op_sel:[0,1]
.LBB0_9:                                ; =>This Inner Loop Header: Depth=1
	v_add_co_u32_e32 v2, vcc, -2, v2
	v_addc_co_u32_e32 v3, vcc, -1, v3, vcc
	v_cmp_eq_u64_e32 vcc, 0, v[2:3]
	ds_write2_b32 v8, v9, v9 offset1:1
	s_or_b64 s[30:31], vcc, s[30:31]
	v_add_u32_e32 v8, 8, v8
	s_andn2_b64 exec, exec, s[30:31]
	s_cbranch_execnz .LBB0_9
; %bb.10:
	s_or_b64 exec, exec, s[30:31]
	v_mad_u64_u32 v[2:3], s[30:31], v6, s33, v[0:1]
	v_mov_b32_e32 v8, v3
	v_mad_u64_u32 v[8:9], s[30:31], v7, s33, v[8:9]
	v_cmp_ne_u64_e32 vcc, v[4:5], v[6:7]
	v_mov_b32_e32 v3, v8
	s_mov_b32 s35, 1
	s_orn2_b64 s[30:31], vcc, exec
.LBB0_11:
	s_or_b64 exec, exec, s[2:3]
	v_mov_b32_e32 v4, s35
	s_and_saveexec_b64 s[2:3], s[30:31]
	s_cbranch_execz .LBB0_15
; %bb.12:
	v_lshl_add_u32 v4, v2, 2, 0
	s_lshl_b32 s35, s33, 2
	s_mov_b64 s[30:31], 0
	v_mov_b32_e32 v5, 0
	v_mov_b32_e32 v6, s34
.LBB0_13:                               ; =>This Inner Loop Header: Depth=1
	v_add_co_u32_e32 v2, vcc, s33, v2
	v_addc_co_u32_e32 v3, vcc, v3, v6, vcc
	v_cmp_le_i64_e32 vcc, s[18:19], v[2:3]
	ds_write_b32 v4, v5
	s_or_b64 s[30:31], vcc, s[30:31]
	v_add_u32_e32 v4, s35, v4
	s_andn2_b64 exec, exec, s[30:31]
	s_cbranch_execnz .LBB0_13
; %bb.14:
	s_or_b64 exec, exec, s[30:31]
	v_mov_b32_e32 v4, s7
.LBB0_15:
	s_or_b64 exec, exec, s[2:3]
.LBB0_16:
	s_or_b64 exec, exec, s[28:29]
	v_and_b32_e32 v2, 0xffff, v4
	v_mad_u64_u32 v[4:5], s[2:3], s6, v2, v[0:1]
	v_mov_b32_e32 v6, 0
	v_mov_b32_e32 v5, v6
	v_cmp_gt_i64_e32 vcc, s[14:15], v[4:5]
	s_waitcnt lgkmcnt(0)
	s_barrier
	s_waitcnt lgkmcnt(0)
                                        ; kill: def $vgpr3 killed $sgpr0 killed $exec
	s_and_saveexec_b64 s[6:7], vcc
	s_cbranch_execz .LBB0_32
; %bb.17:
	s_load_dword s30, s[4:5], 0x4d8
	s_load_dword s31, s[26:27], 0x0
	s_add_u32 s34, s4, 0x340
	s_load_dwordx2 s[26:27], s[4:5], 0x410
	s_load_dwordx2 s[28:29], s[4:5], 0x340
	s_addc_u32 s35, s5, 0
	s_waitcnt lgkmcnt(0)
	s_cmp_gt_i32 s30, 1
	s_cselect_b64 s[2:3], -1, 0
	s_sub_u32 s33, s12, s10
	s_subb_u32 s48, s13, s11
	v_mul_lo_u32 v8, s31, v2
	s_mov_b32 s31, 0
	s_add_i32 s49, s30, 1
	s_add_i32 s30, s30, -1
	s_lshl_b64 s[4:5], s[30:31], 3
	s_add_u32 s4, s4, s34
	s_addc_u32 s5, s5, s35
	s_add_u32 s34, s4, 8
	v_cndmask_b32_e64 v3, 0, 1, s[2:3]
	s_addc_u32 s35, s5, 0
	s_mov_b64 s[36:37], 0
	v_cmp_ne_u32_e64 s[2:3], 1, v3
	s_branch .LBB0_20
.LBB0_18:                               ;   in Loop: Header=BB0_20 Depth=1
	s_or_b64 exec, exec, s[4:5]
	v_mul_lo_u32 v3, v5, s24
	v_mul_lo_u32 v7, v4, s25
	v_mad_u64_u32 v[10:11], s[4:5], v4, s24, 0
	v_add3_u32 v11, v11, v7, v3
	v_lshlrev_b64 v[10:11], 2, v[10:11]
	v_mov_b32_e32 v3, s23
	v_add_co_u32_e32 v10, vcc, s22, v10
	v_addc_co_u32_e32 v11, vcc, v3, v11, vcc
	global_load_dword v3, v[10:11], off
	v_ashrrev_i32_e32 v13, 31, v12
	v_cmp_eq_u64_e32 vcc, s[8:9], v[12:13]
	v_subbrev_co_u32_e32 v7, vcc, 0, v12, vcc
	v_lshl_add_u32 v7, v7, 2, 0
	s_waitcnt vmcnt(0)
	ds_add_f32 v7, v3
	s_waitcnt lgkmcnt(0)
.LBB0_19:                               ;   in Loop: Header=BB0_20 Depth=1
	s_or_b64 exec, exec, s[38:39]
	v_add_co_u32_e32 v4, vcc, v4, v8
	v_addc_co_u32_e32 v5, vcc, 0, v5, vcc
	v_cmp_le_i64_e32 vcc, s[14:15], v[4:5]
	s_or_b64 s[36:37], vcc, s[36:37]
	s_andn2_b64 exec, exec, s[36:37]
	s_cbranch_execz .LBB0_32
.LBB0_20:                               ; =>This Loop Header: Depth=1
                                        ;     Child Loop BB0_21 Depth 2
	s_and_b64 vcc, exec, s[2:3]
	v_pk_mov_b32 v[10:11], 0, 0
	s_mov_b64 s[38:39], s[34:35]
	s_mov_b32 s30, s49
	v_pk_mov_b32 v[12:13], v[4:5], v[4:5] op_sel:[0,1]
	v_pk_mov_b32 v[14:15], v[4:5], v[4:5] op_sel:[0,1]
	s_cbranch_vccnz .LBB0_27
.LBB0_21:                               ;   Parent Loop BB0_20 Depth=1
                                        ; =>  This Inner Loop Header: Depth=2
	s_load_dwordx2 s[40:41], s[38:39], 0x0
                                        ; implicit-def: $vgpr14_vgpr15
	s_waitcnt lgkmcnt(0)
	v_or_b32_e32 v7, s41, v13
	v_cmp_ne_u64_e32 vcc, 0, v[6:7]
	s_and_saveexec_b64 s[4:5], vcc
	s_xor_b64 s[42:43], exec, s[4:5]
	s_cbranch_execz .LBB0_23
; %bb.22:                               ;   in Loop: Header=BB0_21 Depth=2
	s_ashr_i32 s44, s41, 31
	s_add_u32 s4, s40, s44
	s_mov_b32 s45, s44
	s_addc_u32 s5, s41, s44
	s_xor_b64 s[46:47], s[4:5], s[44:45]
	v_cvt_f32_u32_e32 v3, s46
	v_cvt_f32_u32_e32 v7, s47
	s_sub_u32 s4, 0, s46
	s_subb_u32 s5, 0, s47
	v_mac_f32_e32 v3, 0x4f800000, v7
	v_rcp_f32_e32 v3, v3
	v_mul_f32_e32 v3, 0x5f7ffffc, v3
	v_mul_f32_e32 v7, 0x2f800000, v3
	v_trunc_f32_e32 v7, v7
	v_mac_f32_e32 v3, 0xcf800000, v7
	v_cvt_u32_f32_e32 v7, v7
	v_cvt_u32_f32_e32 v3, v3
	v_mul_lo_u32 v9, s4, v7
	v_mul_hi_u32 v15, s4, v3
	v_mul_lo_u32 v14, s5, v3
	v_add_u32_e32 v9, v15, v9
	v_mul_lo_u32 v16, s4, v3
	v_add_u32_e32 v9, v9, v14
	v_mul_lo_u32 v15, v3, v9
	v_mul_hi_u32 v17, v3, v16
	v_mul_hi_u32 v14, v3, v9
	v_add_co_u32_e32 v15, vcc, v17, v15
	v_addc_co_u32_e32 v14, vcc, 0, v14, vcc
	v_mul_hi_u32 v18, v7, v16
	v_mul_lo_u32 v16, v7, v16
	v_add_co_u32_e32 v15, vcc, v15, v16
	v_mul_hi_u32 v17, v7, v9
	v_addc_co_u32_e32 v14, vcc, v14, v18, vcc
	v_addc_co_u32_e32 v15, vcc, 0, v17, vcc
	v_mul_lo_u32 v9, v7, v9
	v_add_co_u32_e32 v9, vcc, v14, v9
	v_addc_co_u32_e32 v14, vcc, 0, v15, vcc
	v_add_co_u32_e32 v3, vcc, v3, v9
	v_addc_co_u32_e32 v7, vcc, v7, v14, vcc
	v_mul_lo_u32 v9, s4, v7
	v_mul_hi_u32 v14, s4, v3
	v_add_u32_e32 v9, v14, v9
	v_mul_lo_u32 v14, s5, v3
	v_add_u32_e32 v9, v9, v14
	v_mul_lo_u32 v15, s4, v3
	v_mul_hi_u32 v16, v7, v15
	v_mul_lo_u32 v17, v7, v15
	v_mul_lo_u32 v19, v3, v9
	v_mul_hi_u32 v15, v3, v15
	v_mul_hi_u32 v18, v3, v9
	v_add_co_u32_e32 v15, vcc, v15, v19
	v_addc_co_u32_e32 v18, vcc, 0, v18, vcc
	v_add_co_u32_e32 v15, vcc, v15, v17
	v_mul_hi_u32 v14, v7, v9
	v_addc_co_u32_e32 v15, vcc, v18, v16, vcc
	v_addc_co_u32_e32 v14, vcc, 0, v14, vcc
	v_mul_lo_u32 v9, v7, v9
	v_add_co_u32_e32 v9, vcc, v15, v9
	v_addc_co_u32_e32 v14, vcc, 0, v14, vcc
	v_add_co_u32_e32 v3, vcc, v3, v9
	v_addc_co_u32_e32 v7, vcc, v7, v14, vcc
	v_ashrrev_i32_e32 v9, 31, v13
	v_add_co_u32_e32 v14, vcc, v12, v9
	v_addc_co_u32_e32 v15, vcc, v13, v9, vcc
	v_xor_b32_e32 v19, v14, v9
	v_xor_b32_e32 v18, v15, v9
	v_mad_u64_u32 v[14:15], s[4:5], v19, v7, 0
	v_mul_hi_u32 v16, v19, v3
	v_add_co_u32_e32 v20, vcc, v16, v14
	v_addc_co_u32_e32 v21, vcc, 0, v15, vcc
	v_mad_u64_u32 v[16:17], s[4:5], v18, v3, 0
	v_add_co_u32_e32 v3, vcc, v20, v16
	v_mad_u64_u32 v[14:15], s[4:5], v18, v7, 0
	v_addc_co_u32_e32 v3, vcc, v21, v17, vcc
	v_addc_co_u32_e32 v7, vcc, 0, v15, vcc
	v_add_co_u32_e32 v3, vcc, v3, v14
	v_addc_co_u32_e32 v7, vcc, 0, v7, vcc
	v_mul_lo_u32 v16, s47, v3
	v_mul_lo_u32 v17, s46, v7
	v_mad_u64_u32 v[14:15], s[4:5], s46, v3, 0
	v_add3_u32 v15, v15, v17, v16
	v_sub_u32_e32 v16, v18, v15
	v_mov_b32_e32 v17, s47
	v_sub_co_u32_e32 v14, vcc, v19, v14
	v_subb_co_u32_e64 v16, s[4:5], v16, v17, vcc
	v_subrev_co_u32_e64 v17, s[4:5], s46, v14
	v_subbrev_co_u32_e64 v16, s[4:5], 0, v16, s[4:5]
	v_cmp_le_u32_e64 s[4:5], s47, v16
	v_cndmask_b32_e64 v19, 0, -1, s[4:5]
	v_cmp_le_u32_e64 s[4:5], s46, v17
	v_cndmask_b32_e64 v17, 0, -1, s[4:5]
	v_cmp_eq_u32_e64 s[4:5], s47, v16
	v_cndmask_b32_e64 v16, v19, v17, s[4:5]
	v_add_co_u32_e64 v17, s[4:5], 2, v3
	v_subb_co_u32_e32 v15, vcc, v18, v15, vcc
	v_addc_co_u32_e64 v19, s[4:5], 0, v7, s[4:5]
	v_cmp_le_u32_e32 vcc, s47, v15
	v_add_co_u32_e64 v20, s[4:5], 1, v3
	v_cndmask_b32_e64 v18, 0, -1, vcc
	v_cmp_le_u32_e32 vcc, s46, v14
	v_addc_co_u32_e64 v21, s[4:5], 0, v7, s[4:5]
	v_cndmask_b32_e64 v14, 0, -1, vcc
	v_cmp_eq_u32_e32 vcc, s47, v15
	v_cmp_ne_u32_e64 s[4:5], 0, v16
	v_cndmask_b32_e32 v14, v18, v14, vcc
	v_cmp_ne_u32_e32 vcc, 0, v14
	v_cndmask_b32_e64 v14, v20, v17, s[4:5]
	v_cndmask_b32_e64 v16, v21, v19, s[4:5]
	v_cndmask_b32_e32 v3, v3, v14, vcc
	v_xor_b32_e32 v9, s44, v9
	v_cndmask_b32_e32 v7, v7, v16, vcc
	v_xor_b32_e32 v3, v3, v9
	v_xor_b32_e32 v7, v7, v9
	v_sub_co_u32_e32 v14, vcc, v3, v9
	v_subb_co_u32_e32 v15, vcc, v7, v9, vcc
.LBB0_23:                               ;   in Loop: Header=BB0_21 Depth=2
	s_andn2_saveexec_b64 s[4:5], s[42:43]
	s_cbranch_execz .LBB0_25
; %bb.24:                               ;   in Loop: Header=BB0_21 Depth=2
	v_cvt_f32_u32_e32 v3, s40
	s_sub_i32 s42, 0, s40
	v_mov_b32_e32 v15, v6
	v_rcp_iflag_f32_e32 v3, v3
	v_mul_f32_e32 v3, 0x4f7ffffe, v3
	v_cvt_u32_f32_e32 v3, v3
	v_mul_lo_u32 v7, s42, v3
	v_mul_hi_u32 v7, v3, v7
	v_add_u32_e32 v3, v3, v7
	v_mul_hi_u32 v3, v12, v3
	v_mul_lo_u32 v7, v3, s40
	v_sub_u32_e32 v7, v12, v7
	v_add_u32_e32 v9, 1, v3
	v_subrev_u32_e32 v14, s40, v7
	v_cmp_le_u32_e32 vcc, s40, v7
	v_cndmask_b32_e32 v7, v7, v14, vcc
	v_cndmask_b32_e32 v3, v3, v9, vcc
	v_add_u32_e32 v9, 1, v3
	v_cmp_le_u32_e32 vcc, s40, v7
	v_cndmask_b32_e32 v14, v3, v9, vcc
.LBB0_25:                               ;   in Loop: Header=BB0_21 Depth=2
	s_or_b64 exec, exec, s[4:5]
	v_mad_u64_u32 v[16:17], s[4:5], v14, s40, 0
	s_load_dwordx2 s[4:5], s[38:39], 0xc8
	v_mul_lo_u32 v3, v15, s40
	v_mul_lo_u32 v7, v14, s41
	v_add3_u32 v3, v17, v7, v3
	v_sub_co_u32_e32 v7, vcc, v12, v16
	s_add_i32 s30, s30, -1
	v_subb_co_u32_e32 v3, vcc, v13, v3, vcc
	s_add_u32 s38, s38, -8
	s_waitcnt lgkmcnt(0)
	v_mul_lo_u32 v3, s4, v3
	v_mul_lo_u32 v9, s5, v7
	v_mad_u64_u32 v[10:11], s[4:5], s4, v7, v[10:11]
	s_addc_u32 s39, s39, -1
	s_cmp_gt_u32 s30, 2
	v_add3_u32 v11, v9, v11, v3
	s_cbranch_scc0 .LBB0_27
; %bb.26:                               ;   in Loop: Header=BB0_21 Depth=2
	v_pk_mov_b32 v[12:13], v[14:15], v[14:15] op_sel:[0,1]
	s_branch .LBB0_21
.LBB0_27:                               ;   in Loop: Header=BB0_20 Depth=1
	v_pk_mov_b32 v[12:13], s[28:29], s[28:29] op_sel:[0,1]
	v_mad_u64_u32 v[12:13], s[4:5], s26, v14, v[12:13]
	v_mul_lo_u32 v3, s26, v15
	v_mul_lo_u32 v7, s27, v14
	v_add3_u32 v3, v7, v13, v3
	v_add_co_u32_e32 v10, vcc, v12, v10
	v_addc_co_u32_e32 v11, vcc, v3, v11, vcc
	global_load_ubyte v3, v[10:11], off
	v_mov_b32_e32 v11, s31
	s_waitcnt vmcnt(0)
	v_and_b32_e32 v10, 0xffff, v3
	v_cmp_le_i64_e32 vcc, s[10:11], v[10:11]
	v_cmp_ge_i64_e64 s[4:5], s[12:13], v[10:11]
	s_and_b64 s[4:5], vcc, s[4:5]
	s_and_saveexec_b64 s[38:39], s[4:5]
	s_cbranch_execz .LBB0_19
; %bb.28:                               ;   in Loop: Header=BB0_20 Depth=1
	v_mov_b32_e32 v3, s11
	v_subrev_co_u32_e32 v7, vcc, s10, v10
	v_subb_co_u32_e32 v3, vcc, 0, v3, vcc
	v_mul_lo_u32 v3, v3, s8
	v_mul_lo_u32 v9, v7, s9
	v_mad_u64_u32 v[10:11], s[4:5], v7, s8, 0
	v_add3_u32 v11, v11, v9, v3
	v_or_b32_e32 v7, s48, v11
	v_cmp_ne_u64_e32 vcc, 0, v[6:7]
                                        ; implicit-def: $vgpr12_vgpr13
	s_and_saveexec_b64 s[4:5], vcc
	s_xor_b64 s[40:41], exec, s[4:5]
	s_cbranch_execz .LBB0_30
; %bb.29:                               ;   in Loop: Header=BB0_20 Depth=1
	s_ashr_i32 s42, s48, 31
	s_add_u32 s4, s33, s42
	s_mov_b32 s43, s42
	s_addc_u32 s5, s48, s42
	s_xor_b64 s[44:45], s[4:5], s[42:43]
	v_cvt_f32_u32_e32 v3, s44
	v_cvt_f32_u32_e32 v7, s45
	s_sub_u32 s4, 0, s44
	s_subb_u32 s5, 0, s45
	v_mac_f32_e32 v3, 0x4f800000, v7
	v_rcp_f32_e32 v3, v3
	v_mul_f32_e32 v3, 0x5f7ffffc, v3
	v_mul_f32_e32 v7, 0x2f800000, v3
	v_trunc_f32_e32 v7, v7
	v_mac_f32_e32 v3, 0xcf800000, v7
	v_cvt_u32_f32_e32 v7, v7
	v_cvt_u32_f32_e32 v3, v3
	v_mul_lo_u32 v9, s4, v7
	v_mul_hi_u32 v13, s4, v3
	v_mul_lo_u32 v12, s5, v3
	v_add_u32_e32 v9, v13, v9
	v_mul_lo_u32 v14, s4, v3
	v_add_u32_e32 v9, v9, v12
	v_mul_lo_u32 v13, v3, v9
	v_mul_hi_u32 v15, v3, v14
	v_mul_hi_u32 v12, v3, v9
	v_add_co_u32_e32 v13, vcc, v15, v13
	v_addc_co_u32_e32 v12, vcc, 0, v12, vcc
	v_mul_hi_u32 v16, v7, v14
	v_mul_lo_u32 v14, v7, v14
	v_add_co_u32_e32 v13, vcc, v13, v14
	v_mul_hi_u32 v15, v7, v9
	v_addc_co_u32_e32 v12, vcc, v12, v16, vcc
	v_addc_co_u32_e32 v13, vcc, 0, v15, vcc
	v_mul_lo_u32 v9, v7, v9
	v_add_co_u32_e32 v9, vcc, v12, v9
	v_addc_co_u32_e32 v12, vcc, 0, v13, vcc
	v_add_co_u32_e32 v3, vcc, v3, v9
	v_addc_co_u32_e32 v7, vcc, v7, v12, vcc
	v_mul_lo_u32 v9, s4, v7
	v_mul_hi_u32 v12, s4, v3
	v_add_u32_e32 v9, v12, v9
	v_mul_lo_u32 v12, s5, v3
	v_add_u32_e32 v9, v9, v12
	v_mul_lo_u32 v13, s4, v3
	v_mul_hi_u32 v14, v7, v13
	v_mul_lo_u32 v15, v7, v13
	v_mul_lo_u32 v17, v3, v9
	v_mul_hi_u32 v13, v3, v13
	v_mul_hi_u32 v16, v3, v9
	v_add_co_u32_e32 v13, vcc, v13, v17
	v_addc_co_u32_e32 v16, vcc, 0, v16, vcc
	v_add_co_u32_e32 v13, vcc, v13, v15
	v_mul_hi_u32 v12, v7, v9
	v_addc_co_u32_e32 v13, vcc, v16, v14, vcc
	v_addc_co_u32_e32 v12, vcc, 0, v12, vcc
	v_mul_lo_u32 v9, v7, v9
	v_add_co_u32_e32 v9, vcc, v13, v9
	v_addc_co_u32_e32 v12, vcc, 0, v12, vcc
	v_add_co_u32_e32 v3, vcc, v3, v9
	v_addc_co_u32_e32 v7, vcc, v7, v12, vcc
	v_ashrrev_i32_e32 v9, 31, v11
	v_add_co_u32_e32 v10, vcc, v10, v9
	v_addc_co_u32_e32 v11, vcc, v11, v9, vcc
	v_xor_b32_e32 v15, v10, v9
	v_xor_b32_e32 v14, v11, v9
	v_mad_u64_u32 v[10:11], s[4:5], v15, v7, 0
	v_mul_hi_u32 v12, v15, v3
	v_add_co_u32_e32 v16, vcc, v12, v10
	v_addc_co_u32_e32 v17, vcc, 0, v11, vcc
	v_mad_u64_u32 v[12:13], s[4:5], v14, v3, 0
	v_add_co_u32_e32 v3, vcc, v16, v12
	v_mad_u64_u32 v[10:11], s[4:5], v14, v7, 0
	v_addc_co_u32_e32 v3, vcc, v17, v13, vcc
	v_addc_co_u32_e32 v7, vcc, 0, v11, vcc
	v_add_co_u32_e32 v3, vcc, v3, v10
	v_addc_co_u32_e32 v7, vcc, 0, v7, vcc
	v_mul_lo_u32 v12, s45, v3
	v_mul_lo_u32 v7, s44, v7
	v_mad_u64_u32 v[10:11], s[4:5], s44, v3, 0
	v_add3_u32 v7, v11, v7, v12
	v_sub_u32_e32 v11, v14, v7
	v_mov_b32_e32 v12, s45
	v_sub_co_u32_e32 v10, vcc, v15, v10
	v_subb_co_u32_e64 v11, s[4:5], v11, v12, vcc
	v_subrev_co_u32_e64 v12, s[4:5], s44, v10
	v_subbrev_co_u32_e64 v11, s[4:5], 0, v11, s[4:5]
	v_cmp_le_u32_e64 s[4:5], s45, v11
	v_subb_co_u32_e32 v7, vcc, v14, v7, vcc
	v_cndmask_b32_e64 v13, 0, -1, s[4:5]
	v_cmp_le_u32_e64 s[4:5], s44, v12
	v_cmp_le_u32_e32 vcc, s45, v7
	v_cndmask_b32_e64 v12, 0, -1, s[4:5]
	v_cmp_eq_u32_e64 s[4:5], s45, v11
	v_cndmask_b32_e64 v14, 0, -1, vcc
	v_cmp_le_u32_e32 vcc, s44, v10
	v_cndmask_b32_e64 v11, v13, v12, s[4:5]
	v_cndmask_b32_e64 v10, 0, -1, vcc
	v_cmp_eq_u32_e32 vcc, s45, v7
	v_add_co_u32_e64 v12, s[4:5], 2, v3
	v_add_co_u32_e64 v13, s[4:5], 1, v3
	v_cndmask_b32_e32 v7, v14, v10, vcc
	v_cmp_ne_u32_e32 vcc, 0, v11
	v_cndmask_b32_e32 v10, v13, v12, vcc
	v_cmp_ne_u32_e32 vcc, 0, v7
	v_cndmask_b32_e32 v3, v3, v10, vcc
	v_xor_b32_e32 v7, s42, v9
	v_xor_b32_e32 v3, v3, v7
	v_sub_co_u32_e32 v12, vcc, v3, v7
                                        ; implicit-def: $vgpr10_vgpr11
.LBB0_30:                               ;   in Loop: Header=BB0_20 Depth=1
	s_andn2_saveexec_b64 s[4:5], s[40:41]
	s_cbranch_execz .LBB0_18
; %bb.31:                               ;   in Loop: Header=BB0_20 Depth=1
	v_cvt_f32_u32_e32 v3, s33
	s_sub_i32 s30, 0, s33
	v_rcp_iflag_f32_e32 v3, v3
	v_mul_f32_e32 v3, 0x4f7ffffe, v3
	v_cvt_u32_f32_e32 v3, v3
	v_mul_lo_u32 v7, s30, v3
	v_mul_hi_u32 v7, v3, v7
	v_add_u32_e32 v3, v3, v7
	v_mul_hi_u32 v3, v10, v3
	v_mul_lo_u32 v7, v3, s33
	v_sub_u32_e32 v7, v10, v7
	v_add_u32_e32 v9, 1, v3
	v_subrev_u32_e32 v10, s33, v7
	v_cmp_le_u32_e32 vcc, s33, v7
	v_cndmask_b32_e32 v7, v7, v10, vcc
	v_cndmask_b32_e32 v3, v3, v9, vcc
	v_add_u32_e32 v9, 1, v3
	v_cmp_le_u32_e32 vcc, s33, v7
	v_cndmask_b32_e32 v12, v3, v9, vcc
	s_branch .LBB0_18
.LBB0_32:
	s_or_b64 exec, exec, s[6:7]
; %bb.33:
	s_barrier
	s_and_saveexec_b64 s[2:3], s[0:1]
	s_cbranch_execz .LBB0_36
; %bb.34:
	v_mad_u64_u32 v[4:5], s[0:1], s20, v0, 0
	v_mov_b32_e32 v6, v5
	v_mad_u64_u32 v[6:7], s[0:1], s21, v0, v[6:7]
	v_mov_b32_e32 v5, v6
	;; [unrolled: 2-line block ×3, first 2 shown]
	v_lshlrev_b64 v[4:5], 2, v[4:5]
	v_mad_u64_u32 v[8:9], s[0:1], s21, v2, v[8:9]
	v_mov_b32_e32 v3, s17
	v_add_co_u32_e32 v4, vcc, s16, v4
	v_mov_b32_e32 v7, v8
	v_addc_co_u32_e32 v5, vcc, v3, v5, vcc
	v_lshlrev_b64 v[6:7], 2, v[6:7]
	v_lshl_add_u32 v3, v0, 2, 0
	v_lshlrev_b32_e32 v8, 2, v2
	s_mov_b64 s[0:1], 0
.LBB0_35:                               ; =>This Inner Loop Header: Depth=1
	ds_read_b32 v9, v3
	v_add_co_u32_e32 v0, vcc, v0, v2
	v_addc_co_u32_e32 v1, vcc, 0, v1, vcc
	s_waitcnt lgkmcnt(0)
	global_atomic_add_f32 v[4:5], v9, off
	v_cmp_le_i64_e32 vcc, s[18:19], v[0:1]
	s_or_b64 s[0:1], vcc, s[0:1]
	v_add_co_u32_e32 v4, vcc, v4, v6
	v_add_u32_e32 v3, v3, v8
	v_addc_co_u32_e32 v5, vcc, v5, v7, vcc
	s_andn2_b64 exec, exec, s[0:1]
	s_cbranch_execnz .LBB0_35
.LBB0_36:
	s_endpgm
	.section	.rodata,"a",@progbits
	.p2align	6, 0x0
	.amdhsa_kernel _ZN2at4cuda17kernelHistogram1DIfhlLi1ELi2ELin1ELNS0_23CUDAHistogramMemoryTypeE0EZNS0_21CUDA_tensor_histogramIfhLb1EEEbNS_6TensorES4_S4_lNS_14AccumulateTypeIT0_Lb1EE4typeES8_NS0_13TensorArgTypeES9_S9_EUllE_EEvNS0_6detail10TensorInfoIT_T1_EESF_NSC_IKS6_SE_EElS8_S8_SE_T6_
		.amdhsa_group_segment_fixed_size 0
		.amdhsa_private_segment_fixed_size 0
		.amdhsa_kernarg_size 1952
		.amdhsa_user_sgpr_count 6
		.amdhsa_user_sgpr_private_segment_buffer 1
		.amdhsa_user_sgpr_dispatch_ptr 0
		.amdhsa_user_sgpr_queue_ptr 0
		.amdhsa_user_sgpr_kernarg_segment_ptr 1
		.amdhsa_user_sgpr_dispatch_id 0
		.amdhsa_user_sgpr_flat_scratch_init 0
		.amdhsa_user_sgpr_kernarg_preload_length 0
		.amdhsa_user_sgpr_kernarg_preload_offset 0
		.amdhsa_user_sgpr_private_segment_size 0
		.amdhsa_uses_dynamic_stack 0
		.amdhsa_system_sgpr_private_segment_wavefront_offset 0
		.amdhsa_system_sgpr_workgroup_id_x 1
		.amdhsa_system_sgpr_workgroup_id_y 0
		.amdhsa_system_sgpr_workgroup_id_z 0
		.amdhsa_system_sgpr_workgroup_info 0
		.amdhsa_system_vgpr_workitem_id 0
		.amdhsa_next_free_vgpr 22
		.amdhsa_next_free_sgpr 50
		.amdhsa_accum_offset 24
		.amdhsa_reserve_vcc 1
		.amdhsa_reserve_flat_scratch 0
		.amdhsa_float_round_mode_32 0
		.amdhsa_float_round_mode_16_64 0
		.amdhsa_float_denorm_mode_32 3
		.amdhsa_float_denorm_mode_16_64 3
		.amdhsa_dx10_clamp 1
		.amdhsa_ieee_mode 1
		.amdhsa_fp16_overflow 0
		.amdhsa_tg_split 0
		.amdhsa_exception_fp_ieee_invalid_op 0
		.amdhsa_exception_fp_denorm_src 0
		.amdhsa_exception_fp_ieee_div_zero 0
		.amdhsa_exception_fp_ieee_overflow 0
		.amdhsa_exception_fp_ieee_underflow 0
		.amdhsa_exception_fp_ieee_inexact 0
		.amdhsa_exception_int_div_zero 0
	.end_amdhsa_kernel
	.section	.text._ZN2at4cuda17kernelHistogram1DIfhlLi1ELi2ELin1ELNS0_23CUDAHistogramMemoryTypeE0EZNS0_21CUDA_tensor_histogramIfhLb1EEEbNS_6TensorES4_S4_lNS_14AccumulateTypeIT0_Lb1EE4typeES8_NS0_13TensorArgTypeES9_S9_EUllE_EEvNS0_6detail10TensorInfoIT_T1_EESF_NSC_IKS6_SE_EElS8_S8_SE_T6_,"axG",@progbits,_ZN2at4cuda17kernelHistogram1DIfhlLi1ELi2ELin1ELNS0_23CUDAHistogramMemoryTypeE0EZNS0_21CUDA_tensor_histogramIfhLb1EEEbNS_6TensorES4_S4_lNS_14AccumulateTypeIT0_Lb1EE4typeES8_NS0_13TensorArgTypeES9_S9_EUllE_EEvNS0_6detail10TensorInfoIT_T1_EESF_NSC_IKS6_SE_EElS8_S8_SE_T6_,comdat
.Lfunc_end0:
	.size	_ZN2at4cuda17kernelHistogram1DIfhlLi1ELi2ELin1ELNS0_23CUDAHistogramMemoryTypeE0EZNS0_21CUDA_tensor_histogramIfhLb1EEEbNS_6TensorES4_S4_lNS_14AccumulateTypeIT0_Lb1EE4typeES8_NS0_13TensorArgTypeES9_S9_EUllE_EEvNS0_6detail10TensorInfoIT_T1_EESF_NSC_IKS6_SE_EElS8_S8_SE_T6_, .Lfunc_end0-_ZN2at4cuda17kernelHistogram1DIfhlLi1ELi2ELin1ELNS0_23CUDAHistogramMemoryTypeE0EZNS0_21CUDA_tensor_histogramIfhLb1EEEbNS_6TensorES4_S4_lNS_14AccumulateTypeIT0_Lb1EE4typeES8_NS0_13TensorArgTypeES9_S9_EUllE_EEvNS0_6detail10TensorInfoIT_T1_EESF_NSC_IKS6_SE_EElS8_S8_SE_T6_
                                        ; -- End function
	.section	.AMDGPU.csdata,"",@progbits
; Kernel info:
; codeLenInByte = 3440
; NumSgprs: 54
; NumVgprs: 22
; NumAgprs: 0
; TotalNumVgprs: 22
; ScratchSize: 0
; MemoryBound: 0
; FloatMode: 240
; IeeeMode: 1
; LDSByteSize: 0 bytes/workgroup (compile time only)
; SGPRBlocks: 6
; VGPRBlocks: 2
; NumSGPRsForWavesPerEU: 54
; NumVGPRsForWavesPerEU: 22
; AccumOffset: 24
; Occupancy: 8
; WaveLimiterHint : 1
; COMPUTE_PGM_RSRC2:SCRATCH_EN: 0
; COMPUTE_PGM_RSRC2:USER_SGPR: 6
; COMPUTE_PGM_RSRC2:TRAP_HANDLER: 0
; COMPUTE_PGM_RSRC2:TGID_X_EN: 1
; COMPUTE_PGM_RSRC2:TGID_Y_EN: 0
; COMPUTE_PGM_RSRC2:TGID_Z_EN: 0
; COMPUTE_PGM_RSRC2:TIDIG_COMP_CNT: 0
; COMPUTE_PGM_RSRC3_GFX90A:ACCUM_OFFSET: 5
; COMPUTE_PGM_RSRC3_GFX90A:TG_SPLIT: 0
	.section	.text._ZN2at4cuda17kernelHistogram1DIfhlLi1ELi2ELin1ELNS0_23CUDAHistogramMemoryTypeE1EZNS0_21CUDA_tensor_histogramIfhLb1EEEbNS_6TensorES4_S4_lNS_14AccumulateTypeIT0_Lb1EE4typeES8_NS0_13TensorArgTypeES9_S9_EUllE_EEvNS0_6detail10TensorInfoIT_T1_EESF_NSC_IKS6_SE_EElS8_S8_SE_T6_,"axG",@progbits,_ZN2at4cuda17kernelHistogram1DIfhlLi1ELi2ELin1ELNS0_23CUDAHistogramMemoryTypeE1EZNS0_21CUDA_tensor_histogramIfhLb1EEEbNS_6TensorES4_S4_lNS_14AccumulateTypeIT0_Lb1EE4typeES8_NS0_13TensorArgTypeES9_S9_EUllE_EEvNS0_6detail10TensorInfoIT_T1_EESF_NSC_IKS6_SE_EElS8_S8_SE_T6_,comdat
	.protected	_ZN2at4cuda17kernelHistogram1DIfhlLi1ELi2ELin1ELNS0_23CUDAHistogramMemoryTypeE1EZNS0_21CUDA_tensor_histogramIfhLb1EEEbNS_6TensorES4_S4_lNS_14AccumulateTypeIT0_Lb1EE4typeES8_NS0_13TensorArgTypeES9_S9_EUllE_EEvNS0_6detail10TensorInfoIT_T1_EESF_NSC_IKS6_SE_EElS8_S8_SE_T6_ ; -- Begin function _ZN2at4cuda17kernelHistogram1DIfhlLi1ELi2ELin1ELNS0_23CUDAHistogramMemoryTypeE1EZNS0_21CUDA_tensor_histogramIfhLb1EEEbNS_6TensorES4_S4_lNS_14AccumulateTypeIT0_Lb1EE4typeES8_NS0_13TensorArgTypeES9_S9_EUllE_EEvNS0_6detail10TensorInfoIT_T1_EESF_NSC_IKS6_SE_EElS8_S8_SE_T6_
	.globl	_ZN2at4cuda17kernelHistogram1DIfhlLi1ELi2ELin1ELNS0_23CUDAHistogramMemoryTypeE1EZNS0_21CUDA_tensor_histogramIfhLb1EEEbNS_6TensorES4_S4_lNS_14AccumulateTypeIT0_Lb1EE4typeES8_NS0_13TensorArgTypeES9_S9_EUllE_EEvNS0_6detail10TensorInfoIT_T1_EESF_NSC_IKS6_SE_EElS8_S8_SE_T6_
	.p2align	8
	.type	_ZN2at4cuda17kernelHistogram1DIfhlLi1ELi2ELin1ELNS0_23CUDAHistogramMemoryTypeE1EZNS0_21CUDA_tensor_histogramIfhLb1EEEbNS_6TensorES4_S4_lNS_14AccumulateTypeIT0_Lb1EE4typeES8_NS0_13TensorArgTypeES9_S9_EUllE_EEvNS0_6detail10TensorInfoIT_T1_EESF_NSC_IKS6_SE_EElS8_S8_SE_T6_,@function
_ZN2at4cuda17kernelHistogram1DIfhlLi1ELi2ELin1ELNS0_23CUDAHistogramMemoryTypeE1EZNS0_21CUDA_tensor_histogramIfhLb1EEEbNS_6TensorES4_S4_lNS_14AccumulateTypeIT0_Lb1EE4typeES8_NS0_13TensorArgTypeES9_S9_EUllE_EEvNS0_6detail10TensorInfoIT_T1_EESF_NSC_IKS6_SE_EElS8_S8_SE_T6_: ; @_ZN2at4cuda17kernelHistogram1DIfhlLi1ELi2ELin1ELNS0_23CUDAHistogramMemoryTypeE1EZNS0_21CUDA_tensor_histogramIfhLb1EEEbNS_6TensorES4_S4_lNS_14AccumulateTypeIT0_Lb1EE4typeES8_NS0_13TensorArgTypeES9_S9_EUllE_EEvNS0_6detail10TensorInfoIT_T1_EESF_NSC_IKS6_SE_EElS8_S8_SE_T6_
; %bb.0:
	s_load_dword s2, s[4:5], 0x6ac
	s_load_dwordx8 s[8:15], s[4:5], 0x4e0
	s_add_u32 s0, s4, 0x6a0
	s_addc_u32 s1, s5, 0
	v_mov_b32_e32 v2, 0
	s_waitcnt lgkmcnt(0)
	s_and_b32 s2, s2, 0xffff
	s_mul_i32 s6, s6, s2
	v_add_u32_e32 v0, s6, v0
	v_mov_b32_e32 v1, v2
	v_cmp_gt_i64_e32 vcc, s[14:15], v[0:1]
	s_and_saveexec_b64 s[6:7], vcc
	s_cbranch_execz .LBB1_16
; %bb.1:
	s_load_dwordx2 s[6:7], s[4:5], 0x5d0
	s_load_dwordx2 s[16:17], s[4:5], 0x500
	s_load_dword s3, s[4:5], 0x4d8
	s_load_dwordx2 s[18:19], s[4:5], 0x0
	s_load_dwordx2 s[20:21], s[4:5], 0xd0
	s_load_dword s28, s[0:1], 0x0
	s_add_u32 s26, s4, 0x340
	s_addc_u32 s27, s5, 0
	s_mov_b32 s42, 0
	s_waitcnt lgkmcnt(0)
	s_cmp_gt_i32 s3, 1
	s_cselect_b64 s[0:1], -1, 0
	s_sub_u32 s33, s12, s10
	s_subb_u32 s40, s13, s11
	s_mul_i32 s41, s28, s2
	s_add_i32 s43, s3, 1
	s_add_i32 s2, s3, -1
	s_mov_b32 s3, s42
	s_load_dwordx2 s[22:23], s[4:5], 0x410
	s_load_dwordx2 s[24:25], s[4:5], 0x340
	s_lshl_b64 s[2:3], s[2:3], 3
	s_add_u32 s2, s2, s26
	s_addc_u32 s3, s3, s27
	s_add_u32 s4, s2, 8
	v_cndmask_b32_e64 v3, 0, 1, s[0:1]
	s_addc_u32 s5, s3, 0
	s_mov_b64 s[26:27], 0
	v_cmp_ne_u32_e64 s[0:1], 1, v3
	s_branch .LBB1_4
.LBB1_2:                                ;   in Loop: Header=BB1_4 Depth=1
	s_or_b64 exec, exec, s[2:3]
	v_mul_lo_u32 v3, v1, s6
	v_mul_lo_u32 v7, v0, s7
	v_mad_u64_u32 v[4:5], s[2:3], v0, s6, 0
	v_add3_u32 v5, v5, v7, v3
	v_lshlrev_b64 v[4:5], 2, v[4:5]
	v_mov_b32_e32 v3, s17
	v_add_co_u32_e32 v4, vcc, s16, v4
	v_addc_co_u32_e32 v5, vcc, v3, v5, vcc
	global_load_dword v3, v[4:5], off
	v_ashrrev_i32_e32 v7, 31, v6
	v_cmp_eq_u64_e32 vcc, s[8:9], v[6:7]
	v_cndmask_b32_e64 v4, 0, 1, vcc
	v_sub_co_u32_e32 v4, vcc, v6, v4
	v_subbrev_co_u32_e32 v5, vcc, 0, v7, vcc
	v_mul_lo_u32 v6, v5, s20
	v_mul_lo_u32 v7, v4, s21
	v_mad_u64_u32 v[4:5], s[2:3], v4, s20, 0
	v_add3_u32 v5, v5, v7, v6
	v_lshlrev_b64 v[4:5], 2, v[4:5]
	v_mov_b32_e32 v6, s19
	v_add_co_u32_e32 v4, vcc, s18, v4
	v_addc_co_u32_e32 v5, vcc, v6, v5, vcc
	s_waitcnt vmcnt(0)
	global_atomic_add_f32 v[4:5], v3, off
.LBB1_3:                                ;   in Loop: Header=BB1_4 Depth=1
	s_or_b64 exec, exec, s[28:29]
	v_mov_b32_e32 v3, s42
	v_add_co_u32_e32 v0, vcc, s41, v0
	v_addc_co_u32_e32 v1, vcc, v1, v3, vcc
	v_cmp_le_i64_e32 vcc, s[14:15], v[0:1]
	s_or_b64 s[26:27], vcc, s[26:27]
	s_andn2_b64 exec, exec, s[26:27]
	s_cbranch_execz .LBB1_16
.LBB1_4:                                ; =>This Loop Header: Depth=1
                                        ;     Child Loop BB1_5 Depth 2
	s_and_b64 vcc, exec, s[0:1]
	v_pk_mov_b32 v[4:5], 0, 0
	s_mov_b64 s[28:29], s[4:5]
	s_mov_b32 s44, s43
	v_pk_mov_b32 v[6:7], v[0:1], v[0:1] op_sel:[0,1]
	v_pk_mov_b32 v[8:9], v[0:1], v[0:1] op_sel:[0,1]
	s_cbranch_vccnz .LBB1_11
.LBB1_5:                                ;   Parent Loop BB1_4 Depth=1
                                        ; =>  This Inner Loop Header: Depth=2
	s_load_dwordx2 s[30:31], s[28:29], 0x0
                                        ; implicit-def: $vgpr8_vgpr9
	s_waitcnt lgkmcnt(0)
	v_or_b32_e32 v3, s31, v7
	v_cmp_ne_u64_e32 vcc, 0, v[2:3]
	s_and_saveexec_b64 s[2:3], vcc
	s_xor_b64 s[34:35], exec, s[2:3]
	s_cbranch_execz .LBB1_7
; %bb.6:                                ;   in Loop: Header=BB1_5 Depth=2
	s_ashr_i32 s36, s31, 31
	s_add_u32 s2, s30, s36
	s_mov_b32 s37, s36
	s_addc_u32 s3, s31, s36
	s_xor_b64 s[38:39], s[2:3], s[36:37]
	v_cvt_f32_u32_e32 v3, s38
	v_cvt_f32_u32_e32 v8, s39
	s_sub_u32 s2, 0, s38
	s_subb_u32 s3, 0, s39
	v_mac_f32_e32 v3, 0x4f800000, v8
	v_rcp_f32_e32 v3, v3
	v_mul_f32_e32 v3, 0x5f7ffffc, v3
	v_mul_f32_e32 v8, 0x2f800000, v3
	v_trunc_f32_e32 v8, v8
	v_mac_f32_e32 v3, 0xcf800000, v8
	v_cvt_u32_f32_e32 v8, v8
	v_cvt_u32_f32_e32 v3, v3
	v_mul_lo_u32 v9, s2, v8
	v_mul_hi_u32 v11, s2, v3
	v_mul_lo_u32 v10, s3, v3
	v_add_u32_e32 v9, v11, v9
	v_mul_lo_u32 v12, s2, v3
	v_add_u32_e32 v9, v9, v10
	v_mul_lo_u32 v11, v3, v9
	v_mul_hi_u32 v13, v3, v12
	v_mul_hi_u32 v10, v3, v9
	v_add_co_u32_e32 v11, vcc, v13, v11
	v_addc_co_u32_e32 v10, vcc, 0, v10, vcc
	v_mul_hi_u32 v14, v8, v12
	v_mul_lo_u32 v12, v8, v12
	v_add_co_u32_e32 v11, vcc, v11, v12
	v_mul_hi_u32 v13, v8, v9
	v_addc_co_u32_e32 v10, vcc, v10, v14, vcc
	v_addc_co_u32_e32 v11, vcc, 0, v13, vcc
	v_mul_lo_u32 v9, v8, v9
	v_add_co_u32_e32 v9, vcc, v10, v9
	v_addc_co_u32_e32 v10, vcc, 0, v11, vcc
	v_add_co_u32_e32 v3, vcc, v3, v9
	v_addc_co_u32_e32 v8, vcc, v8, v10, vcc
	v_mul_lo_u32 v9, s2, v8
	v_mul_hi_u32 v10, s2, v3
	v_add_u32_e32 v9, v10, v9
	v_mul_lo_u32 v10, s3, v3
	v_add_u32_e32 v9, v9, v10
	v_mul_lo_u32 v11, s2, v3
	v_mul_hi_u32 v12, v8, v11
	v_mul_lo_u32 v13, v8, v11
	v_mul_lo_u32 v15, v3, v9
	v_mul_hi_u32 v11, v3, v11
	v_mul_hi_u32 v14, v3, v9
	v_add_co_u32_e32 v11, vcc, v11, v15
	v_addc_co_u32_e32 v14, vcc, 0, v14, vcc
	v_add_co_u32_e32 v11, vcc, v11, v13
	v_mul_hi_u32 v10, v8, v9
	v_addc_co_u32_e32 v11, vcc, v14, v12, vcc
	v_addc_co_u32_e32 v10, vcc, 0, v10, vcc
	v_mul_lo_u32 v9, v8, v9
	v_add_co_u32_e32 v9, vcc, v11, v9
	v_addc_co_u32_e32 v10, vcc, 0, v10, vcc
	v_add_co_u32_e32 v3, vcc, v3, v9
	v_addc_co_u32_e32 v10, vcc, v8, v10, vcc
	v_ashrrev_i32_e32 v12, 31, v7
	v_add_co_u32_e32 v8, vcc, v6, v12
	v_addc_co_u32_e32 v9, vcc, v7, v12, vcc
	v_xor_b32_e32 v14, v8, v12
	v_xor_b32_e32 v13, v9, v12
	v_mad_u64_u32 v[8:9], s[2:3], v14, v10, 0
	v_mul_hi_u32 v11, v14, v3
	v_add_co_u32_e32 v15, vcc, v11, v8
	v_addc_co_u32_e32 v16, vcc, 0, v9, vcc
	v_mad_u64_u32 v[8:9], s[2:3], v13, v10, 0
	v_mad_u64_u32 v[10:11], s[2:3], v13, v3, 0
	v_add_co_u32_e32 v3, vcc, v15, v10
	v_addc_co_u32_e32 v3, vcc, v16, v11, vcc
	v_addc_co_u32_e32 v9, vcc, 0, v9, vcc
	v_add_co_u32_e32 v3, vcc, v3, v8
	v_addc_co_u32_e32 v10, vcc, 0, v9, vcc
	v_mul_lo_u32 v11, s39, v3
	v_mul_lo_u32 v15, s38, v10
	v_mad_u64_u32 v[8:9], s[2:3], s38, v3, 0
	v_add3_u32 v9, v9, v15, v11
	v_sub_u32_e32 v11, v13, v9
	v_mov_b32_e32 v15, s39
	v_sub_co_u32_e32 v8, vcc, v14, v8
	v_subb_co_u32_e64 v11, s[2:3], v11, v15, vcc
	v_subrev_co_u32_e64 v14, s[2:3], s38, v8
	v_subbrev_co_u32_e64 v11, s[2:3], 0, v11, s[2:3]
	v_cmp_le_u32_e64 s[2:3], s39, v11
	v_cndmask_b32_e64 v15, 0, -1, s[2:3]
	v_cmp_le_u32_e64 s[2:3], s38, v14
	v_cndmask_b32_e64 v14, 0, -1, s[2:3]
	v_cmp_eq_u32_e64 s[2:3], s39, v11
	v_cndmask_b32_e64 v11, v15, v14, s[2:3]
	v_add_co_u32_e64 v14, s[2:3], 2, v3
	v_subb_co_u32_e32 v9, vcc, v13, v9, vcc
	v_addc_co_u32_e64 v15, s[2:3], 0, v10, s[2:3]
	v_cmp_le_u32_e32 vcc, s39, v9
	v_add_co_u32_e64 v16, s[2:3], 1, v3
	v_cndmask_b32_e64 v13, 0, -1, vcc
	v_cmp_le_u32_e32 vcc, s38, v8
	v_addc_co_u32_e64 v17, s[2:3], 0, v10, s[2:3]
	v_cndmask_b32_e64 v8, 0, -1, vcc
	v_cmp_eq_u32_e32 vcc, s39, v9
	v_cmp_ne_u32_e64 s[2:3], 0, v11
	v_cndmask_b32_e32 v8, v13, v8, vcc
	v_cmp_ne_u32_e32 vcc, 0, v8
	v_cndmask_b32_e64 v9, v16, v14, s[2:3]
	v_cndmask_b32_e64 v11, v17, v15, s[2:3]
	v_cndmask_b32_e32 v3, v3, v9, vcc
	v_xor_b32_e32 v9, s36, v12
	v_cndmask_b32_e32 v8, v10, v11, vcc
	v_xor_b32_e32 v3, v3, v9
	v_xor_b32_e32 v10, v8, v9
	v_sub_co_u32_e32 v8, vcc, v3, v9
	v_subb_co_u32_e32 v9, vcc, v10, v9, vcc
.LBB1_7:                                ;   in Loop: Header=BB1_5 Depth=2
	s_andn2_saveexec_b64 s[2:3], s[34:35]
	s_cbranch_execz .LBB1_9
; %bb.8:                                ;   in Loop: Header=BB1_5 Depth=2
	v_cvt_f32_u32_e32 v3, s30
	s_sub_i32 s34, 0, s30
	v_rcp_iflag_f32_e32 v3, v3
	v_mul_f32_e32 v3, 0x4f7ffffe, v3
	v_cvt_u32_f32_e32 v3, v3
	v_mul_lo_u32 v8, s34, v3
	v_mul_hi_u32 v8, v3, v8
	v_add_u32_e32 v3, v3, v8
	v_mul_hi_u32 v3, v6, v3
	v_mul_lo_u32 v8, v3, s30
	v_sub_u32_e32 v8, v6, v8
	v_add_u32_e32 v9, 1, v3
	v_subrev_u32_e32 v10, s30, v8
	v_cmp_le_u32_e32 vcc, s30, v8
	v_cndmask_b32_e32 v8, v8, v10, vcc
	v_cndmask_b32_e32 v3, v3, v9, vcc
	v_add_u32_e32 v9, 1, v3
	v_cmp_le_u32_e32 vcc, s30, v8
	v_cndmask_b32_e32 v8, v3, v9, vcc
	v_mov_b32_e32 v9, v2
.LBB1_9:                                ;   in Loop: Header=BB1_5 Depth=2
	s_or_b64 exec, exec, s[2:3]
	v_mad_u64_u32 v[10:11], s[2:3], v8, s30, 0
	s_load_dwordx2 s[2:3], s[28:29], 0xc8
	v_mul_lo_u32 v3, v9, s30
	v_mul_lo_u32 v12, v8, s31
	v_add3_u32 v3, v11, v12, v3
	v_sub_co_u32_e32 v6, vcc, v6, v10
	s_add_i32 s44, s44, -1
	v_subb_co_u32_e32 v3, vcc, v7, v3, vcc
	s_add_u32 s28, s28, -8
	s_waitcnt lgkmcnt(0)
	v_mul_lo_u32 v3, s2, v3
	v_mul_lo_u32 v7, s3, v6
	v_mad_u64_u32 v[4:5], s[2:3], s2, v6, v[4:5]
	s_addc_u32 s29, s29, -1
	s_cmp_gt_u32 s44, 2
	v_add3_u32 v5, v7, v5, v3
	s_cbranch_scc0 .LBB1_11
; %bb.10:                               ;   in Loop: Header=BB1_5 Depth=2
	v_pk_mov_b32 v[6:7], v[8:9], v[8:9] op_sel:[0,1]
	s_branch .LBB1_5
.LBB1_11:                               ;   in Loop: Header=BB1_4 Depth=1
	s_waitcnt lgkmcnt(0)
	v_pk_mov_b32 v[6:7], s[24:25], s[24:25] op_sel:[0,1]
	v_mad_u64_u32 v[6:7], s[2:3], s22, v8, v[6:7]
	v_mul_lo_u32 v3, s22, v9
	v_mul_lo_u32 v8, s23, v8
	v_add3_u32 v3, v8, v7, v3
	v_add_co_u32_e32 v4, vcc, v6, v4
	v_addc_co_u32_e32 v5, vcc, v3, v5, vcc
	global_load_ubyte v3, v[4:5], off
	v_mov_b32_e32 v5, s42
	s_waitcnt vmcnt(0)
	v_and_b32_e32 v4, 0xffff, v3
	v_cmp_le_i64_e32 vcc, s[10:11], v[4:5]
	v_cmp_ge_i64_e64 s[2:3], s[12:13], v[4:5]
	s_and_b64 s[2:3], vcc, s[2:3]
	s_and_saveexec_b64 s[28:29], s[2:3]
	s_cbranch_execz .LBB1_3
; %bb.12:                               ;   in Loop: Header=BB1_4 Depth=1
	v_mov_b32_e32 v3, s11
	v_subrev_co_u32_e32 v4, vcc, s10, v4
	v_subb_co_u32_e32 v3, vcc, 0, v3, vcc
	v_mul_lo_u32 v3, v3, s8
	v_mul_lo_u32 v6, v4, s9
	v_mad_u64_u32 v[4:5], s[2:3], v4, s8, 0
	v_add3_u32 v5, v5, v6, v3
	v_or_b32_e32 v3, s40, v5
	v_cmp_ne_u64_e32 vcc, 0, v[2:3]
                                        ; implicit-def: $vgpr6_vgpr7
	s_and_saveexec_b64 s[2:3], vcc
	s_xor_b64 s[30:31], exec, s[2:3]
	s_cbranch_execz .LBB1_14
; %bb.13:                               ;   in Loop: Header=BB1_4 Depth=1
	s_ashr_i32 s34, s40, 31
	s_add_u32 s2, s33, s34
	s_mov_b32 s35, s34
	s_addc_u32 s3, s40, s34
	s_xor_b64 s[36:37], s[2:3], s[34:35]
	v_cvt_f32_u32_e32 v3, s36
	v_cvt_f32_u32_e32 v6, s37
	s_sub_u32 s2, 0, s36
	s_subb_u32 s3, 0, s37
	v_mac_f32_e32 v3, 0x4f800000, v6
	v_rcp_f32_e32 v3, v3
	v_mul_f32_e32 v3, 0x5f7ffffc, v3
	v_mul_f32_e32 v6, 0x2f800000, v3
	v_trunc_f32_e32 v6, v6
	v_mac_f32_e32 v3, 0xcf800000, v6
	v_cvt_u32_f32_e32 v6, v6
	v_cvt_u32_f32_e32 v3, v3
	v_mul_lo_u32 v7, s2, v6
	v_mul_hi_u32 v9, s2, v3
	v_mul_lo_u32 v8, s3, v3
	v_add_u32_e32 v7, v9, v7
	v_mul_lo_u32 v10, s2, v3
	v_add_u32_e32 v7, v7, v8
	v_mul_lo_u32 v9, v3, v7
	v_mul_hi_u32 v11, v3, v10
	v_mul_hi_u32 v8, v3, v7
	v_add_co_u32_e32 v9, vcc, v11, v9
	v_addc_co_u32_e32 v8, vcc, 0, v8, vcc
	v_mul_hi_u32 v12, v6, v10
	v_mul_lo_u32 v10, v6, v10
	v_add_co_u32_e32 v9, vcc, v9, v10
	v_mul_hi_u32 v11, v6, v7
	v_addc_co_u32_e32 v8, vcc, v8, v12, vcc
	v_addc_co_u32_e32 v9, vcc, 0, v11, vcc
	v_mul_lo_u32 v7, v6, v7
	v_add_co_u32_e32 v7, vcc, v8, v7
	v_addc_co_u32_e32 v8, vcc, 0, v9, vcc
	v_add_co_u32_e32 v3, vcc, v3, v7
	v_addc_co_u32_e32 v6, vcc, v6, v8, vcc
	v_mul_lo_u32 v7, s2, v6
	v_mul_hi_u32 v8, s2, v3
	v_add_u32_e32 v7, v8, v7
	v_mul_lo_u32 v8, s3, v3
	v_add_u32_e32 v7, v7, v8
	v_mul_lo_u32 v9, s2, v3
	v_mul_hi_u32 v10, v6, v9
	v_mul_lo_u32 v11, v6, v9
	v_mul_lo_u32 v13, v3, v7
	v_mul_hi_u32 v9, v3, v9
	v_mul_hi_u32 v12, v3, v7
	v_add_co_u32_e32 v9, vcc, v9, v13
	v_addc_co_u32_e32 v12, vcc, 0, v12, vcc
	v_add_co_u32_e32 v9, vcc, v9, v11
	v_mul_hi_u32 v8, v6, v7
	v_addc_co_u32_e32 v9, vcc, v12, v10, vcc
	v_addc_co_u32_e32 v8, vcc, 0, v8, vcc
	v_mul_lo_u32 v7, v6, v7
	v_add_co_u32_e32 v7, vcc, v9, v7
	v_addc_co_u32_e32 v8, vcc, 0, v8, vcc
	v_add_co_u32_e32 v3, vcc, v3, v7
	v_addc_co_u32_e32 v6, vcc, v6, v8, vcc
	v_ashrrev_i32_e32 v8, 31, v5
	v_add_co_u32_e32 v4, vcc, v4, v8
	v_addc_co_u32_e32 v5, vcc, v5, v8, vcc
	v_xor_b32_e32 v10, v4, v8
	v_xor_b32_e32 v9, v5, v8
	v_mad_u64_u32 v[4:5], s[2:3], v10, v6, 0
	v_mul_hi_u32 v7, v10, v3
	v_add_co_u32_e32 v11, vcc, v7, v4
	v_addc_co_u32_e32 v12, vcc, 0, v5, vcc
	v_mad_u64_u32 v[4:5], s[2:3], v9, v6, 0
	v_mad_u64_u32 v[6:7], s[2:3], v9, v3, 0
	v_add_co_u32_e32 v3, vcc, v11, v6
	v_addc_co_u32_e32 v3, vcc, v12, v7, vcc
	v_addc_co_u32_e32 v5, vcc, 0, v5, vcc
	v_add_co_u32_e32 v3, vcc, v3, v4
	v_addc_co_u32_e32 v4, vcc, 0, v5, vcc
	v_mul_lo_u32 v6, s37, v3
	v_mul_lo_u32 v7, s36, v4
	v_mad_u64_u32 v[4:5], s[2:3], s36, v3, 0
	v_add3_u32 v5, v5, v7, v6
	v_sub_u32_e32 v6, v9, v5
	v_mov_b32_e32 v7, s37
	v_sub_co_u32_e32 v4, vcc, v10, v4
	v_subb_co_u32_e64 v6, s[2:3], v6, v7, vcc
	v_subrev_co_u32_e64 v7, s[2:3], s36, v4
	v_subbrev_co_u32_e64 v6, s[2:3], 0, v6, s[2:3]
	v_cmp_le_u32_e64 s[2:3], s37, v6
	v_subb_co_u32_e32 v5, vcc, v9, v5, vcc
	v_cndmask_b32_e64 v10, 0, -1, s[2:3]
	v_cmp_le_u32_e64 s[2:3], s36, v7
	v_cmp_le_u32_e32 vcc, s37, v5
	v_cndmask_b32_e64 v7, 0, -1, s[2:3]
	v_cmp_eq_u32_e64 s[2:3], s37, v6
	v_cndmask_b32_e64 v9, 0, -1, vcc
	v_cmp_le_u32_e32 vcc, s36, v4
	v_cndmask_b32_e64 v6, v10, v7, s[2:3]
	v_cndmask_b32_e64 v4, 0, -1, vcc
	v_cmp_eq_u32_e32 vcc, s37, v5
	v_add_co_u32_e64 v7, s[2:3], 2, v3
	v_add_co_u32_e64 v10, s[2:3], 1, v3
	v_cndmask_b32_e32 v4, v9, v4, vcc
	v_cmp_ne_u32_e32 vcc, 0, v6
	v_cndmask_b32_e32 v5, v10, v7, vcc
	v_cmp_ne_u32_e32 vcc, 0, v4
	v_cndmask_b32_e32 v3, v3, v5, vcc
	v_xor_b32_e32 v4, s34, v8
	v_xor_b32_e32 v3, v3, v4
	v_sub_co_u32_e32 v6, vcc, v3, v4
                                        ; implicit-def: $vgpr4_vgpr5
.LBB1_14:                               ;   in Loop: Header=BB1_4 Depth=1
	s_andn2_saveexec_b64 s[2:3], s[30:31]
	s_cbranch_execz .LBB1_2
; %bb.15:                               ;   in Loop: Header=BB1_4 Depth=1
	v_cvt_f32_u32_e32 v3, s33
	s_sub_i32 s30, 0, s33
	v_rcp_iflag_f32_e32 v3, v3
	v_mul_f32_e32 v3, 0x4f7ffffe, v3
	v_cvt_u32_f32_e32 v3, v3
	v_mul_lo_u32 v5, s30, v3
	v_mul_hi_u32 v5, v3, v5
	v_add_u32_e32 v3, v3, v5
	v_mul_hi_u32 v3, v4, v3
	v_mul_lo_u32 v5, v3, s33
	v_sub_u32_e32 v4, v4, v5
	v_add_u32_e32 v6, 1, v3
	v_subrev_u32_e32 v5, s33, v4
	v_cmp_le_u32_e32 vcc, s33, v4
	v_cndmask_b32_e32 v4, v4, v5, vcc
	v_cndmask_b32_e32 v3, v3, v6, vcc
	v_add_u32_e32 v5, 1, v3
	v_cmp_le_u32_e32 vcc, s33, v4
	v_cndmask_b32_e32 v6, v3, v5, vcc
	s_branch .LBB1_2
.LBB1_16:
	s_endpgm
	.section	.rodata,"a",@progbits
	.p2align	6, 0x0
	.amdhsa_kernel _ZN2at4cuda17kernelHistogram1DIfhlLi1ELi2ELin1ELNS0_23CUDAHistogramMemoryTypeE1EZNS0_21CUDA_tensor_histogramIfhLb1EEEbNS_6TensorES4_S4_lNS_14AccumulateTypeIT0_Lb1EE4typeES8_NS0_13TensorArgTypeES9_S9_EUllE_EEvNS0_6detail10TensorInfoIT_T1_EESF_NSC_IKS6_SE_EElS8_S8_SE_T6_
		.amdhsa_group_segment_fixed_size 0
		.amdhsa_private_segment_fixed_size 0
		.amdhsa_kernarg_size 1952
		.amdhsa_user_sgpr_count 6
		.amdhsa_user_sgpr_private_segment_buffer 1
		.amdhsa_user_sgpr_dispatch_ptr 0
		.amdhsa_user_sgpr_queue_ptr 0
		.amdhsa_user_sgpr_kernarg_segment_ptr 1
		.amdhsa_user_sgpr_dispatch_id 0
		.amdhsa_user_sgpr_flat_scratch_init 0
		.amdhsa_user_sgpr_kernarg_preload_length 0
		.amdhsa_user_sgpr_kernarg_preload_offset 0
		.amdhsa_user_sgpr_private_segment_size 0
		.amdhsa_uses_dynamic_stack 0
		.amdhsa_system_sgpr_private_segment_wavefront_offset 0
		.amdhsa_system_sgpr_workgroup_id_x 1
		.amdhsa_system_sgpr_workgroup_id_y 0
		.amdhsa_system_sgpr_workgroup_id_z 0
		.amdhsa_system_sgpr_workgroup_info 0
		.amdhsa_system_vgpr_workitem_id 0
		.amdhsa_next_free_vgpr 18
		.amdhsa_next_free_sgpr 45
		.amdhsa_accum_offset 20
		.amdhsa_reserve_vcc 1
		.amdhsa_reserve_flat_scratch 0
		.amdhsa_float_round_mode_32 0
		.amdhsa_float_round_mode_16_64 0
		.amdhsa_float_denorm_mode_32 3
		.amdhsa_float_denorm_mode_16_64 3
		.amdhsa_dx10_clamp 1
		.amdhsa_ieee_mode 1
		.amdhsa_fp16_overflow 0
		.amdhsa_tg_split 0
		.amdhsa_exception_fp_ieee_invalid_op 0
		.amdhsa_exception_fp_denorm_src 0
		.amdhsa_exception_fp_ieee_div_zero 0
		.amdhsa_exception_fp_ieee_overflow 0
		.amdhsa_exception_fp_ieee_underflow 0
		.amdhsa_exception_fp_ieee_inexact 0
		.amdhsa_exception_int_div_zero 0
	.end_amdhsa_kernel
	.section	.text._ZN2at4cuda17kernelHistogram1DIfhlLi1ELi2ELin1ELNS0_23CUDAHistogramMemoryTypeE1EZNS0_21CUDA_tensor_histogramIfhLb1EEEbNS_6TensorES4_S4_lNS_14AccumulateTypeIT0_Lb1EE4typeES8_NS0_13TensorArgTypeES9_S9_EUllE_EEvNS0_6detail10TensorInfoIT_T1_EESF_NSC_IKS6_SE_EElS8_S8_SE_T6_,"axG",@progbits,_ZN2at4cuda17kernelHistogram1DIfhlLi1ELi2ELin1ELNS0_23CUDAHistogramMemoryTypeE1EZNS0_21CUDA_tensor_histogramIfhLb1EEEbNS_6TensorES4_S4_lNS_14AccumulateTypeIT0_Lb1EE4typeES8_NS0_13TensorArgTypeES9_S9_EUllE_EEvNS0_6detail10TensorInfoIT_T1_EESF_NSC_IKS6_SE_EElS8_S8_SE_T6_,comdat
.Lfunc_end1:
	.size	_ZN2at4cuda17kernelHistogram1DIfhlLi1ELi2ELin1ELNS0_23CUDAHistogramMemoryTypeE1EZNS0_21CUDA_tensor_histogramIfhLb1EEEbNS_6TensorES4_S4_lNS_14AccumulateTypeIT0_Lb1EE4typeES8_NS0_13TensorArgTypeES9_S9_EUllE_EEvNS0_6detail10TensorInfoIT_T1_EESF_NSC_IKS6_SE_EElS8_S8_SE_T6_, .Lfunc_end1-_ZN2at4cuda17kernelHistogram1DIfhlLi1ELi2ELin1ELNS0_23CUDAHistogramMemoryTypeE1EZNS0_21CUDA_tensor_histogramIfhLb1EEEbNS_6TensorES4_S4_lNS_14AccumulateTypeIT0_Lb1EE4typeES8_NS0_13TensorArgTypeES9_S9_EUllE_EEvNS0_6detail10TensorInfoIT_T1_EESF_NSC_IKS6_SE_EElS8_S8_SE_T6_
                                        ; -- End function
	.section	.AMDGPU.csdata,"",@progbits
; Kernel info:
; codeLenInByte = 2280
; NumSgprs: 49
; NumVgprs: 18
; NumAgprs: 0
; TotalNumVgprs: 18
; ScratchSize: 0
; MemoryBound: 0
; FloatMode: 240
; IeeeMode: 1
; LDSByteSize: 0 bytes/workgroup (compile time only)
; SGPRBlocks: 6
; VGPRBlocks: 2
; NumSGPRsForWavesPerEU: 49
; NumVGPRsForWavesPerEU: 18
; AccumOffset: 20
; Occupancy: 8
; WaveLimiterHint : 1
; COMPUTE_PGM_RSRC2:SCRATCH_EN: 0
; COMPUTE_PGM_RSRC2:USER_SGPR: 6
; COMPUTE_PGM_RSRC2:TRAP_HANDLER: 0
; COMPUTE_PGM_RSRC2:TGID_X_EN: 1
; COMPUTE_PGM_RSRC2:TGID_Y_EN: 0
; COMPUTE_PGM_RSRC2:TGID_Z_EN: 0
; COMPUTE_PGM_RSRC2:TIDIG_COMP_CNT: 0
; COMPUTE_PGM_RSRC3_GFX90A:ACCUM_OFFSET: 4
; COMPUTE_PGM_RSRC3_GFX90A:TG_SPLIT: 0
	.section	.text._ZN2at4cuda17kernelHistogram1DIfhlLi1ELi2ELin1ELNS0_23CUDAHistogramMemoryTypeE0EZNS0_21CUDA_tensor_histogramIfhLb1EEEbNS_6TensorES4_S4_lNS_14AccumulateTypeIT0_Lb1EE4typeES8_NS0_13TensorArgTypeES9_S9_EUllE0_EEvNS0_6detail10TensorInfoIT_T1_EESF_NSC_IKS6_SE_EElS8_S8_SE_T6_,"axG",@progbits,_ZN2at4cuda17kernelHistogram1DIfhlLi1ELi2ELin1ELNS0_23CUDAHistogramMemoryTypeE0EZNS0_21CUDA_tensor_histogramIfhLb1EEEbNS_6TensorES4_S4_lNS_14AccumulateTypeIT0_Lb1EE4typeES8_NS0_13TensorArgTypeES9_S9_EUllE0_EEvNS0_6detail10TensorInfoIT_T1_EESF_NSC_IKS6_SE_EElS8_S8_SE_T6_,comdat
	.protected	_ZN2at4cuda17kernelHistogram1DIfhlLi1ELi2ELin1ELNS0_23CUDAHistogramMemoryTypeE0EZNS0_21CUDA_tensor_histogramIfhLb1EEEbNS_6TensorES4_S4_lNS_14AccumulateTypeIT0_Lb1EE4typeES8_NS0_13TensorArgTypeES9_S9_EUllE0_EEvNS0_6detail10TensorInfoIT_T1_EESF_NSC_IKS6_SE_EElS8_S8_SE_T6_ ; -- Begin function _ZN2at4cuda17kernelHistogram1DIfhlLi1ELi2ELin1ELNS0_23CUDAHistogramMemoryTypeE0EZNS0_21CUDA_tensor_histogramIfhLb1EEEbNS_6TensorES4_S4_lNS_14AccumulateTypeIT0_Lb1EE4typeES8_NS0_13TensorArgTypeES9_S9_EUllE0_EEvNS0_6detail10TensorInfoIT_T1_EESF_NSC_IKS6_SE_EElS8_S8_SE_T6_
	.globl	_ZN2at4cuda17kernelHistogram1DIfhlLi1ELi2ELin1ELNS0_23CUDAHistogramMemoryTypeE0EZNS0_21CUDA_tensor_histogramIfhLb1EEEbNS_6TensorES4_S4_lNS_14AccumulateTypeIT0_Lb1EE4typeES8_NS0_13TensorArgTypeES9_S9_EUllE0_EEvNS0_6detail10TensorInfoIT_T1_EESF_NSC_IKS6_SE_EElS8_S8_SE_T6_
	.p2align	8
	.type	_ZN2at4cuda17kernelHistogram1DIfhlLi1ELi2ELin1ELNS0_23CUDAHistogramMemoryTypeE0EZNS0_21CUDA_tensor_histogramIfhLb1EEEbNS_6TensorES4_S4_lNS_14AccumulateTypeIT0_Lb1EE4typeES8_NS0_13TensorArgTypeES9_S9_EUllE0_EEvNS0_6detail10TensorInfoIT_T1_EESF_NSC_IKS6_SE_EElS8_S8_SE_T6_,@function
_ZN2at4cuda17kernelHistogram1DIfhlLi1ELi2ELin1ELNS0_23CUDAHistogramMemoryTypeE0EZNS0_21CUDA_tensor_histogramIfhLb1EEEbNS_6TensorES4_S4_lNS_14AccumulateTypeIT0_Lb1EE4typeES8_NS0_13TensorArgTypeES9_S9_EUllE0_EEvNS0_6detail10TensorInfoIT_T1_EESF_NSC_IKS6_SE_EElS8_S8_SE_T6_: ; @_ZN2at4cuda17kernelHistogram1DIfhlLi1ELi2ELin1ELNS0_23CUDAHistogramMemoryTypeE0EZNS0_21CUDA_tensor_histogramIfhLb1EEEbNS_6TensorES4_S4_lNS_14AccumulateTypeIT0_Lb1EE4typeES8_NS0_13TensorArgTypeES9_S9_EUllE0_EEvNS0_6detail10TensorInfoIT_T1_EESF_NSC_IKS6_SE_EElS8_S8_SE_T6_
; %bb.0:
	s_load_dwordx4 s[16:19], s[4:5], 0x0
	v_mov_b32_e32 v1, 0
	s_add_u32 s22, s4, 0x508
	s_addc_u32 s23, s5, 0
                                        ; implicit-def: $sgpr7
	s_waitcnt lgkmcnt(0)
	v_cmp_gt_i64_e64 s[0:1], s[18:19], v[0:1]
	v_cmp_le_i64_e32 vcc, s[18:19], v[0:1]
	s_and_saveexec_b64 s[2:3], vcc
	s_xor_b64 s[2:3], exec, s[2:3]
	s_cbranch_execz .LBB2_2
; %bb.1:
	s_load_dword s7, s[22:23], 0xc
.LBB2_2:
	s_or_saveexec_b64 s[8:9], s[2:3]
	s_load_dwordx2 s[20:21], s[4:5], 0xd0
	s_waitcnt lgkmcnt(0)
	v_mov_b32_e32 v4, s7
	s_xor_b64 exec, exec, s[8:9]
	s_cbranch_execz .LBB2_16
; %bb.3:
	s_load_dword s7, s[22:23], 0xc
	v_mov_b32_e32 v2, s19
	s_mov_b32 s13, 0
	s_waitcnt lgkmcnt(0)
	s_and_b32 s12, s7, 0xffff
	v_add_co_u32_e32 v4, vcc, s12, v0
	v_addc_co_u32_e64 v5, s[2:3], 0, 0, vcc
	v_cmp_gt_i64_e32 vcc, s[18:19], v[4:5]
	v_cndmask_b32_e32 v6, v5, v2, vcc
	v_mov_b32_e32 v2, s18
	v_cndmask_b32_e32 v3, v4, v2, vcc
	v_cndmask_b32_e64 v2, 0, 1, vcc
	v_add_co_u32_e32 v4, vcc, v4, v2
	v_addc_co_u32_e32 v5, vcc, 0, v5, vcc
	v_sub_co_u32_e32 v3, vcc, v3, v4
	v_subb_co_u32_e32 v5, vcc, v6, v5, vcc
	v_mov_b32_e32 v4, 0
	v_cmp_ne_u64_e32 vcc, 0, v[4:5]
                                        ; implicit-def: $vgpr6_vgpr7
	s_and_saveexec_b64 s[2:3], vcc
	s_xor_b64 s[10:11], exec, s[2:3]
	s_cbranch_execz .LBB2_5
; %bb.4:
	v_cvt_f32_u32_e32 v4, s12
	v_mov_b32_e32 v6, 0x4f800000
	s_sub_u32 s2, 0, s12
	s_subb_u32 s3, 0, 0
	v_mac_f32_e32 v4, 0, v6
	v_rcp_f32_e32 v4, v4
	v_mul_f32_e32 v4, 0x5f7ffffc, v4
	v_mul_f32_e32 v6, 0x2f800000, v4
	v_trunc_f32_e32 v6, v6
	v_madmk_f32 v4, v6, 0xcf800000, v4
	v_cvt_u32_f32_e32 v6, v6
	v_cvt_u32_f32_e32 v4, v4
	v_mul_lo_u32 v7, s2, v6
	v_mul_hi_u32 v9, s2, v4
	v_mul_lo_u32 v8, s3, v4
	v_add_u32_e32 v7, v9, v7
	v_mul_lo_u32 v10, s2, v4
	v_add_u32_e32 v7, v7, v8
	v_mul_hi_u32 v9, v4, v10
	v_mul_lo_u32 v11, v4, v7
	v_mul_hi_u32 v8, v4, v7
	v_add_co_u32_e32 v9, vcc, v9, v11
	v_addc_co_u32_e32 v8, vcc, 0, v8, vcc
	v_mul_hi_u32 v12, v6, v10
	v_mul_lo_u32 v10, v6, v10
	v_add_co_u32_e32 v9, vcc, v9, v10
	v_mul_hi_u32 v11, v6, v7
	v_addc_co_u32_e32 v8, vcc, v8, v12, vcc
	v_addc_co_u32_e32 v9, vcc, 0, v11, vcc
	v_mul_lo_u32 v7, v6, v7
	v_add_co_u32_e32 v7, vcc, v8, v7
	v_addc_co_u32_e32 v8, vcc, 0, v9, vcc
	v_add_co_u32_e32 v4, vcc, v4, v7
	v_addc_co_u32_e32 v6, vcc, v6, v8, vcc
	v_mul_lo_u32 v7, s2, v6
	v_mul_hi_u32 v8, s2, v4
	v_add_u32_e32 v7, v8, v7
	v_mul_lo_u32 v8, s3, v4
	v_add_u32_e32 v7, v7, v8
	v_mul_lo_u32 v9, s2, v4
	v_mul_hi_u32 v10, v6, v9
	v_mul_lo_u32 v11, v6, v9
	v_mul_lo_u32 v13, v4, v7
	v_mul_hi_u32 v9, v4, v9
	v_mul_hi_u32 v12, v4, v7
	v_add_co_u32_e32 v9, vcc, v9, v13
	v_addc_co_u32_e32 v12, vcc, 0, v12, vcc
	v_add_co_u32_e32 v9, vcc, v9, v11
	v_mul_hi_u32 v8, v6, v7
	v_addc_co_u32_e32 v9, vcc, v12, v10, vcc
	v_addc_co_u32_e32 v8, vcc, 0, v8, vcc
	v_mul_lo_u32 v7, v6, v7
	v_add_co_u32_e32 v7, vcc, v9, v7
	v_addc_co_u32_e32 v8, vcc, 0, v8, vcc
	v_add_co_u32_e32 v4, vcc, v4, v7
	v_addc_co_u32_e32 v8, vcc, v6, v8, vcc
	v_mad_u64_u32 v[6:7], s[2:3], v3, v8, 0
	v_mul_hi_u32 v9, v3, v4
	v_add_co_u32_e32 v10, vcc, v9, v6
	v_addc_co_u32_e32 v11, vcc, 0, v7, vcc
	v_mad_u64_u32 v[6:7], s[2:3], v5, v8, 0
	v_mad_u64_u32 v[8:9], s[2:3], v5, v4, 0
	v_add_co_u32_e32 v4, vcc, v10, v8
	v_addc_co_u32_e32 v4, vcc, v11, v9, vcc
	v_addc_co_u32_e32 v7, vcc, 0, v7, vcc
	v_add_co_u32_e32 v10, vcc, v4, v6
	v_addc_co_u32_e32 v11, vcc, 0, v7, vcc
	v_mad_u64_u32 v[6:7], s[2:3], s12, v10, 0
	v_mov_b32_e32 v4, v7
	v_mad_u64_u32 v[8:9], s[2:3], s12, v11, v[4:5]
	v_sub_co_u32_e32 v3, vcc, v3, v6
	v_subb_co_u32_e32 v4, vcc, v5, v8, vcc
	v_subrev_co_u32_e32 v5, vcc, s12, v3
	v_subbrev_co_u32_e32 v6, vcc, 0, v4, vcc
	v_cmp_le_u32_e32 vcc, s12, v5
	v_cndmask_b32_e64 v5, 0, -1, vcc
	v_cmp_eq_u32_e32 vcc, 0, v6
	v_cndmask_b32_e32 v5, -1, v5, vcc
	v_add_co_u32_e32 v6, vcc, 2, v10
	v_addc_co_u32_e32 v7, vcc, 0, v11, vcc
	v_add_co_u32_e32 v8, vcc, 1, v10
	v_cmp_le_u32_e64 s[2:3], s12, v3
	v_addc_co_u32_e32 v9, vcc, 0, v11, vcc
	v_cndmask_b32_e64 v3, 0, -1, s[2:3]
	v_cmp_eq_u32_e64 s[2:3], 0, v4
	v_cmp_ne_u32_e32 vcc, 0, v5
	v_cndmask_b32_e64 v3, -1, v3, s[2:3]
	v_cndmask_b32_e32 v5, v9, v7, vcc
	v_cmp_ne_u32_e64 s[2:3], 0, v3
	v_cndmask_b32_e32 v3, v8, v6, vcc
	v_cndmask_b32_e64 v7, v11, v5, s[2:3]
	v_cndmask_b32_e64 v6, v10, v3, s[2:3]
                                        ; implicit-def: $vgpr3
.LBB2_5:
	s_andn2_saveexec_b64 s[2:3], s[10:11]
	s_cbranch_execz .LBB2_7
; %bb.6:
	v_cvt_f32_u32_e32 v4, s12
	s_sub_i32 s10, 0, s12
	v_mov_b32_e32 v7, 0
	v_rcp_iflag_f32_e32 v4, v4
	v_mul_f32_e32 v4, 0x4f7ffffe, v4
	v_cvt_u32_f32_e32 v4, v4
	v_mul_lo_u32 v5, s10, v4
	v_mul_hi_u32 v5, v4, v5
	v_add_u32_e32 v4, v4, v5
	v_mul_hi_u32 v4, v3, v4
	v_mul_lo_u32 v5, v4, s12
	v_sub_u32_e32 v3, v3, v5
	v_add_u32_e32 v6, 1, v4
	v_subrev_u32_e32 v5, s12, v3
	v_cmp_le_u32_e32 vcc, s12, v3
	v_cndmask_b32_e32 v3, v3, v5, vcc
	v_cndmask_b32_e32 v4, v4, v6, vcc
	v_add_u32_e32 v5, 1, v4
	v_cmp_le_u32_e32 vcc, s12, v3
	v_cndmask_b32_e32 v6, v4, v5, vcc
.LBB2_7:
	s_or_b64 exec, exec, s[2:3]
	v_add_co_u32_e32 v2, vcc, v6, v2
	v_addc_co_u32_e32 v3, vcc, 0, v7, vcc
	v_add_co_u32_e32 v4, vcc, 1, v2
	v_addc_co_u32_e32 v5, vcc, 0, v3, vcc
	v_cmp_lt_u64_e32 vcc, 1, v[4:5]
	v_cmp_eq_u16_e64 s[2:3], s7, 1
	s_and_b64 s[24:25], vcc, s[2:3]
	s_mov_b64 s[10:11], -1
	v_pk_mov_b32 v[2:3], v[0:1], v[0:1] op_sel:[0,1]
                                        ; implicit-def: $sgpr14
	s_and_saveexec_b64 s[2:3], s[24:25]
	s_cbranch_execz .LBB2_11
; %bb.8:
	v_and_b32_e32 v6, -2, v4
	v_mov_b32_e32 v7, v5
	v_lshl_add_u32 v8, v0, 2, 0
	s_mov_b64 s[10:11], 0
	v_mov_b32_e32 v9, 0
	v_pk_mov_b32 v[2:3], v[6:7], v[6:7] op_sel:[0,1]
.LBB2_9:                                ; =>This Inner Loop Header: Depth=1
	v_add_co_u32_e32 v2, vcc, -2, v2
	v_addc_co_u32_e32 v3, vcc, -1, v3, vcc
	v_cmp_eq_u64_e32 vcc, 0, v[2:3]
	ds_write2_b32 v8, v9, v9 offset1:1
	s_or_b64 s[10:11], vcc, s[10:11]
	v_add_u32_e32 v8, 8, v8
	s_andn2_b64 exec, exec, s[10:11]
	s_cbranch_execnz .LBB2_9
; %bb.10:
	s_or_b64 exec, exec, s[10:11]
	v_mad_u64_u32 v[2:3], s[10:11], v6, s12, v[0:1]
	v_mov_b32_e32 v8, v3
	v_mad_u64_u32 v[8:9], s[10:11], v7, s12, v[8:9]
	v_cmp_ne_u64_e32 vcc, v[4:5], v[6:7]
	v_mov_b32_e32 v3, v8
	s_mov_b32 s14, 1
	s_orn2_b64 s[10:11], vcc, exec
.LBB2_11:
	s_or_b64 exec, exec, s[2:3]
	v_mov_b32_e32 v4, s14
	s_and_saveexec_b64 s[2:3], s[10:11]
	s_cbranch_execz .LBB2_15
; %bb.12:
	v_lshl_add_u32 v4, v2, 2, 0
	s_lshl_b32 s14, s12, 2
	s_mov_b64 s[10:11], 0
	v_mov_b32_e32 v5, 0
	v_mov_b32_e32 v6, s13
.LBB2_13:                               ; =>This Inner Loop Header: Depth=1
	v_add_co_u32_e32 v2, vcc, s12, v2
	v_addc_co_u32_e32 v3, vcc, v3, v6, vcc
	v_cmp_le_i64_e32 vcc, s[18:19], v[2:3]
	ds_write_b32 v4, v5
	s_or_b64 s[10:11], vcc, s[10:11]
	v_add_u32_e32 v4, s14, v4
	s_andn2_b64 exec, exec, s[10:11]
	s_cbranch_execnz .LBB2_13
; %bb.14:
	s_or_b64 exec, exec, s[10:11]
	v_mov_b32_e32 v4, s7
.LBB2_15:
	s_or_b64 exec, exec, s[2:3]
.LBB2_16:
	s_or_b64 exec, exec, s[8:9]
	s_load_dwordx8 s[8:15], s[4:5], 0x4e0
	v_and_b32_e32 v2, 0xffff, v4
	v_mad_u64_u32 v[4:5], s[2:3], s6, v2, v[0:1]
	v_mov_b32_e32 v6, 0
	v_mov_b32_e32 v5, v6
	s_waitcnt lgkmcnt(0)
	v_cmp_gt_i64_e32 vcc, s[14:15], v[4:5]
	s_barrier
	s_waitcnt lgkmcnt(0)
                                        ; kill: def $vgpr3 killed $sgpr0 killed $exec
	s_and_saveexec_b64 s[6:7], vcc
	s_cbranch_execz .LBB2_32
; %bb.17:
	s_load_dword s26, s[4:5], 0x4d8
	s_load_dword s27, s[22:23], 0x0
	s_add_u32 s28, s4, 0x340
	s_load_dwordx2 s[22:23], s[4:5], 0x410
	s_load_dwordx2 s[24:25], s[4:5], 0x340
	s_addc_u32 s29, s5, 0
	s_waitcnt lgkmcnt(0)
	s_cmp_gt_i32 s26, 1
	s_cselect_b64 s[2:3], -1, 0
	s_sub_u32 s33, s12, s10
	s_subb_u32 s44, s13, s11
	v_mul_lo_u32 v8, s27, v2
	s_mov_b32 s27, 0
	s_add_i32 s45, s26, 1
	s_add_i32 s26, s26, -1
	s_lshl_b64 s[4:5], s[26:27], 3
	s_add_u32 s4, s4, s28
	s_addc_u32 s5, s5, s29
	s_add_u32 s28, s4, 8
	v_cndmask_b32_e64 v3, 0, 1, s[2:3]
	s_addc_u32 s29, s5, 0
	s_mov_b64 s[30:31], 0
	v_cmp_ne_u32_e64 s[2:3], 1, v3
	v_mov_b32_e32 v3, 1.0
	s_branch .LBB2_20
.LBB2_18:                               ;   in Loop: Header=BB2_20 Depth=1
	s_or_b64 exec, exec, s[4:5]
	v_ashrrev_i32_e32 v13, 31, v12
	v_cmp_eq_u64_e32 vcc, s[8:9], v[12:13]
	v_subbrev_co_u32_e32 v7, vcc, 0, v12, vcc
	v_lshl_add_u32 v7, v7, 2, 0
	ds_add_f32 v7, v3
	s_waitcnt lgkmcnt(0)
.LBB2_19:                               ;   in Loop: Header=BB2_20 Depth=1
	s_or_b64 exec, exec, s[34:35]
	v_add_co_u32_e32 v4, vcc, v4, v8
	v_addc_co_u32_e32 v5, vcc, 0, v5, vcc
	v_cmp_le_i64_e32 vcc, s[14:15], v[4:5]
	s_or_b64 s[30:31], vcc, s[30:31]
	s_andn2_b64 exec, exec, s[30:31]
	s_cbranch_execz .LBB2_32
.LBB2_20:                               ; =>This Loop Header: Depth=1
                                        ;     Child Loop BB2_21 Depth 2
	s_and_b64 vcc, exec, s[2:3]
	v_pk_mov_b32 v[10:11], 0, 0
	s_mov_b64 s[34:35], s[28:29]
	s_mov_b32 s26, s45
	v_pk_mov_b32 v[12:13], v[4:5], v[4:5] op_sel:[0,1]
	v_pk_mov_b32 v[14:15], v[4:5], v[4:5] op_sel:[0,1]
	s_cbranch_vccnz .LBB2_27
.LBB2_21:                               ;   Parent Loop BB2_20 Depth=1
                                        ; =>  This Inner Loop Header: Depth=2
	s_load_dwordx2 s[36:37], s[34:35], 0x0
                                        ; implicit-def: $vgpr14_vgpr15
	s_waitcnt lgkmcnt(0)
	v_or_b32_e32 v7, s37, v13
	v_cmp_ne_u64_e32 vcc, 0, v[6:7]
	s_and_saveexec_b64 s[4:5], vcc
	s_xor_b64 s[38:39], exec, s[4:5]
	s_cbranch_execz .LBB2_23
; %bb.22:                               ;   in Loop: Header=BB2_21 Depth=2
	s_ashr_i32 s40, s37, 31
	s_add_u32 s4, s36, s40
	s_mov_b32 s41, s40
	s_addc_u32 s5, s37, s40
	s_xor_b64 s[42:43], s[4:5], s[40:41]
	v_cvt_f32_u32_e32 v7, s42
	v_cvt_f32_u32_e32 v9, s43
	s_sub_u32 s4, 0, s42
	s_subb_u32 s5, 0, s43
	v_mac_f32_e32 v7, 0x4f800000, v9
	v_rcp_f32_e32 v7, v7
	v_mul_f32_e32 v7, 0x5f7ffffc, v7
	v_mul_f32_e32 v9, 0x2f800000, v7
	v_trunc_f32_e32 v9, v9
	v_mac_f32_e32 v7, 0xcf800000, v9
	v_cvt_u32_f32_e32 v9, v9
	v_cvt_u32_f32_e32 v7, v7
	v_mul_lo_u32 v14, s4, v9
	v_mul_hi_u32 v16, s4, v7
	v_mul_lo_u32 v15, s5, v7
	v_add_u32_e32 v14, v16, v14
	v_mul_lo_u32 v17, s4, v7
	v_add_u32_e32 v14, v14, v15
	v_mul_lo_u32 v16, v7, v14
	v_mul_hi_u32 v18, v7, v17
	v_mul_hi_u32 v15, v7, v14
	v_add_co_u32_e32 v16, vcc, v18, v16
	v_addc_co_u32_e32 v15, vcc, 0, v15, vcc
	v_mul_hi_u32 v19, v9, v17
	v_mul_lo_u32 v17, v9, v17
	v_add_co_u32_e32 v16, vcc, v16, v17
	v_mul_hi_u32 v18, v9, v14
	v_addc_co_u32_e32 v15, vcc, v15, v19, vcc
	v_addc_co_u32_e32 v16, vcc, 0, v18, vcc
	v_mul_lo_u32 v14, v9, v14
	v_add_co_u32_e32 v14, vcc, v15, v14
	v_addc_co_u32_e32 v15, vcc, 0, v16, vcc
	v_add_co_u32_e32 v7, vcc, v7, v14
	v_addc_co_u32_e32 v9, vcc, v9, v15, vcc
	v_mul_lo_u32 v14, s4, v9
	v_mul_hi_u32 v15, s4, v7
	v_add_u32_e32 v14, v15, v14
	v_mul_lo_u32 v15, s5, v7
	v_add_u32_e32 v14, v14, v15
	v_mul_lo_u32 v16, s4, v7
	v_mul_hi_u32 v17, v9, v16
	v_mul_lo_u32 v18, v9, v16
	v_mul_lo_u32 v20, v7, v14
	v_mul_hi_u32 v16, v7, v16
	v_mul_hi_u32 v19, v7, v14
	v_add_co_u32_e32 v16, vcc, v16, v20
	v_addc_co_u32_e32 v19, vcc, 0, v19, vcc
	v_add_co_u32_e32 v16, vcc, v16, v18
	v_mul_hi_u32 v15, v9, v14
	v_addc_co_u32_e32 v16, vcc, v19, v17, vcc
	v_addc_co_u32_e32 v15, vcc, 0, v15, vcc
	v_mul_lo_u32 v14, v9, v14
	v_add_co_u32_e32 v14, vcc, v16, v14
	v_addc_co_u32_e32 v15, vcc, 0, v15, vcc
	v_add_co_u32_e32 v7, vcc, v7, v14
	v_addc_co_u32_e32 v9, vcc, v9, v15, vcc
	v_ashrrev_i32_e32 v18, 31, v13
	v_add_co_u32_e32 v14, vcc, v12, v18
	v_addc_co_u32_e32 v15, vcc, v13, v18, vcc
	v_xor_b32_e32 v20, v14, v18
	v_xor_b32_e32 v19, v15, v18
	v_mad_u64_u32 v[14:15], s[4:5], v20, v9, 0
	v_mul_hi_u32 v16, v20, v7
	v_add_co_u32_e32 v21, vcc, v16, v14
	v_addc_co_u32_e32 v22, vcc, 0, v15, vcc
	v_mad_u64_u32 v[16:17], s[4:5], v19, v7, 0
	v_add_co_u32_e32 v7, vcc, v21, v16
	v_mad_u64_u32 v[14:15], s[4:5], v19, v9, 0
	v_addc_co_u32_e32 v7, vcc, v22, v17, vcc
	v_addc_co_u32_e32 v9, vcc, 0, v15, vcc
	v_add_co_u32_e32 v7, vcc, v7, v14
	v_addc_co_u32_e32 v9, vcc, 0, v9, vcc
	v_mul_lo_u32 v16, s43, v7
	v_mul_lo_u32 v17, s42, v9
	v_mad_u64_u32 v[14:15], s[4:5], s42, v7, 0
	v_add3_u32 v15, v15, v17, v16
	v_sub_u32_e32 v16, v19, v15
	v_mov_b32_e32 v17, s43
	v_sub_co_u32_e32 v14, vcc, v20, v14
	v_subb_co_u32_e64 v16, s[4:5], v16, v17, vcc
	v_subrev_co_u32_e64 v17, s[4:5], s42, v14
	v_subbrev_co_u32_e64 v16, s[4:5], 0, v16, s[4:5]
	v_cmp_le_u32_e64 s[4:5], s43, v16
	v_cndmask_b32_e64 v20, 0, -1, s[4:5]
	v_cmp_le_u32_e64 s[4:5], s42, v17
	v_cndmask_b32_e64 v17, 0, -1, s[4:5]
	v_cmp_eq_u32_e64 s[4:5], s43, v16
	v_cndmask_b32_e64 v16, v20, v17, s[4:5]
	v_add_co_u32_e64 v17, s[4:5], 2, v7
	v_subb_co_u32_e32 v15, vcc, v19, v15, vcc
	v_addc_co_u32_e64 v20, s[4:5], 0, v9, s[4:5]
	v_cmp_le_u32_e32 vcc, s43, v15
	v_add_co_u32_e64 v21, s[4:5], 1, v7
	v_cndmask_b32_e64 v19, 0, -1, vcc
	v_cmp_le_u32_e32 vcc, s42, v14
	v_addc_co_u32_e64 v22, s[4:5], 0, v9, s[4:5]
	v_cndmask_b32_e64 v14, 0, -1, vcc
	v_cmp_eq_u32_e32 vcc, s43, v15
	v_cmp_ne_u32_e64 s[4:5], 0, v16
	v_cndmask_b32_e32 v14, v19, v14, vcc
	v_cmp_ne_u32_e32 vcc, 0, v14
	v_cndmask_b32_e64 v14, v21, v17, s[4:5]
	v_cndmask_b32_e64 v16, v22, v20, s[4:5]
	v_cndmask_b32_e32 v7, v7, v14, vcc
	v_xor_b32_e32 v15, s40, v18
	v_cndmask_b32_e32 v9, v9, v16, vcc
	v_xor_b32_e32 v7, v7, v15
	v_xor_b32_e32 v9, v9, v15
	v_sub_co_u32_e32 v14, vcc, v7, v15
	v_subb_co_u32_e32 v15, vcc, v9, v15, vcc
.LBB2_23:                               ;   in Loop: Header=BB2_21 Depth=2
	s_andn2_saveexec_b64 s[4:5], s[38:39]
	s_cbranch_execz .LBB2_25
; %bb.24:                               ;   in Loop: Header=BB2_21 Depth=2
	v_cvt_f32_u32_e32 v7, s36
	s_sub_i32 s38, 0, s36
	v_rcp_iflag_f32_e32 v7, v7
	v_mul_f32_e32 v7, 0x4f7ffffe, v7
	v_cvt_u32_f32_e32 v7, v7
	v_mul_lo_u32 v9, s38, v7
	v_mul_hi_u32 v9, v7, v9
	v_add_u32_e32 v7, v7, v9
	v_mul_hi_u32 v7, v12, v7
	v_mul_lo_u32 v9, v7, s36
	v_sub_u32_e32 v9, v12, v9
	v_add_u32_e32 v14, 1, v7
	v_subrev_u32_e32 v15, s36, v9
	v_cmp_le_u32_e32 vcc, s36, v9
	v_cndmask_b32_e32 v9, v9, v15, vcc
	v_cndmask_b32_e32 v7, v7, v14, vcc
	v_add_u32_e32 v14, 1, v7
	v_cmp_le_u32_e32 vcc, s36, v9
	v_cndmask_b32_e32 v14, v7, v14, vcc
	v_mov_b32_e32 v15, v6
.LBB2_25:                               ;   in Loop: Header=BB2_21 Depth=2
	s_or_b64 exec, exec, s[4:5]
	v_mad_u64_u32 v[16:17], s[4:5], v14, s36, 0
	s_load_dwordx2 s[4:5], s[34:35], 0xc8
	v_mul_lo_u32 v7, v15, s36
	v_mul_lo_u32 v9, v14, s37
	v_add3_u32 v7, v17, v9, v7
	v_sub_co_u32_e32 v9, vcc, v12, v16
	s_add_i32 s26, s26, -1
	v_subb_co_u32_e32 v7, vcc, v13, v7, vcc
	s_add_u32 s34, s34, -8
	s_waitcnt lgkmcnt(0)
	v_mul_lo_u32 v7, s4, v7
	v_mul_lo_u32 v12, s5, v9
	v_mad_u64_u32 v[10:11], s[4:5], s4, v9, v[10:11]
	s_addc_u32 s35, s35, -1
	s_cmp_gt_u32 s26, 2
	v_add3_u32 v11, v12, v11, v7
	s_cbranch_scc0 .LBB2_27
; %bb.26:                               ;   in Loop: Header=BB2_21 Depth=2
	v_pk_mov_b32 v[12:13], v[14:15], v[14:15] op_sel:[0,1]
	s_branch .LBB2_21
.LBB2_27:                               ;   in Loop: Header=BB2_20 Depth=1
	v_pk_mov_b32 v[12:13], s[24:25], s[24:25] op_sel:[0,1]
	v_mad_u64_u32 v[12:13], s[4:5], s22, v14, v[12:13]
	v_mul_lo_u32 v7, s22, v15
	v_mul_lo_u32 v9, s23, v14
	v_add3_u32 v7, v9, v13, v7
	v_add_co_u32_e32 v10, vcc, v12, v10
	v_addc_co_u32_e32 v11, vcc, v7, v11, vcc
	global_load_ubyte v7, v[10:11], off
	v_mov_b32_e32 v11, s27
	s_waitcnt vmcnt(0)
	v_and_b32_e32 v10, 0xffff, v7
	v_cmp_le_i64_e32 vcc, s[10:11], v[10:11]
	v_cmp_ge_i64_e64 s[4:5], s[12:13], v[10:11]
	s_and_b64 s[4:5], vcc, s[4:5]
	s_and_saveexec_b64 s[34:35], s[4:5]
	s_cbranch_execz .LBB2_19
; %bb.28:                               ;   in Loop: Header=BB2_20 Depth=1
	v_mov_b32_e32 v7, s11
	v_subrev_co_u32_e32 v9, vcc, s10, v10
	v_subb_co_u32_e32 v7, vcc, 0, v7, vcc
	v_mul_lo_u32 v7, v7, s8
	v_mul_lo_u32 v12, v9, s9
	v_mad_u64_u32 v[10:11], s[4:5], v9, s8, 0
	v_add3_u32 v11, v11, v12, v7
	v_or_b32_e32 v7, s44, v11
	v_cmp_ne_u64_e32 vcc, 0, v[6:7]
                                        ; implicit-def: $vgpr12_vgpr13
	s_and_saveexec_b64 s[4:5], vcc
	s_xor_b64 s[36:37], exec, s[4:5]
	s_cbranch_execz .LBB2_30
; %bb.29:                               ;   in Loop: Header=BB2_20 Depth=1
	s_ashr_i32 s38, s44, 31
	s_add_u32 s4, s33, s38
	s_mov_b32 s39, s38
	s_addc_u32 s5, s44, s38
	s_xor_b64 s[40:41], s[4:5], s[38:39]
	v_cvt_f32_u32_e32 v7, s40
	v_cvt_f32_u32_e32 v9, s41
	s_sub_u32 s4, 0, s40
	s_subb_u32 s5, 0, s41
	v_mac_f32_e32 v7, 0x4f800000, v9
	v_rcp_f32_e32 v7, v7
	v_mul_f32_e32 v7, 0x5f7ffffc, v7
	v_mul_f32_e32 v9, 0x2f800000, v7
	v_trunc_f32_e32 v9, v9
	v_mac_f32_e32 v7, 0xcf800000, v9
	v_cvt_u32_f32_e32 v9, v9
	v_cvt_u32_f32_e32 v7, v7
	v_mul_lo_u32 v12, s4, v9
	v_mul_hi_u32 v14, s4, v7
	v_mul_lo_u32 v13, s5, v7
	v_add_u32_e32 v12, v14, v12
	v_mul_lo_u32 v15, s4, v7
	v_add_u32_e32 v12, v12, v13
	v_mul_lo_u32 v14, v7, v12
	v_mul_hi_u32 v16, v7, v15
	v_mul_hi_u32 v13, v7, v12
	v_add_co_u32_e32 v14, vcc, v16, v14
	v_addc_co_u32_e32 v13, vcc, 0, v13, vcc
	v_mul_hi_u32 v17, v9, v15
	v_mul_lo_u32 v15, v9, v15
	v_add_co_u32_e32 v14, vcc, v14, v15
	v_mul_hi_u32 v16, v9, v12
	v_addc_co_u32_e32 v13, vcc, v13, v17, vcc
	v_addc_co_u32_e32 v14, vcc, 0, v16, vcc
	v_mul_lo_u32 v12, v9, v12
	v_add_co_u32_e32 v12, vcc, v13, v12
	v_addc_co_u32_e32 v13, vcc, 0, v14, vcc
	v_add_co_u32_e32 v7, vcc, v7, v12
	v_addc_co_u32_e32 v9, vcc, v9, v13, vcc
	v_mul_lo_u32 v12, s4, v9
	v_mul_hi_u32 v13, s4, v7
	v_add_u32_e32 v12, v13, v12
	v_mul_lo_u32 v13, s5, v7
	v_add_u32_e32 v12, v12, v13
	v_mul_lo_u32 v14, s4, v7
	v_mul_hi_u32 v15, v9, v14
	v_mul_lo_u32 v16, v9, v14
	v_mul_lo_u32 v18, v7, v12
	v_mul_hi_u32 v14, v7, v14
	v_mul_hi_u32 v17, v7, v12
	v_add_co_u32_e32 v14, vcc, v14, v18
	v_addc_co_u32_e32 v17, vcc, 0, v17, vcc
	v_add_co_u32_e32 v14, vcc, v14, v16
	v_mul_hi_u32 v13, v9, v12
	v_addc_co_u32_e32 v14, vcc, v17, v15, vcc
	v_addc_co_u32_e32 v13, vcc, 0, v13, vcc
	v_mul_lo_u32 v12, v9, v12
	v_add_co_u32_e32 v12, vcc, v14, v12
	v_addc_co_u32_e32 v13, vcc, 0, v13, vcc
	v_add_co_u32_e32 v7, vcc, v7, v12
	v_addc_co_u32_e32 v9, vcc, v9, v13, vcc
	v_ashrrev_i32_e32 v14, 31, v11
	v_add_co_u32_e32 v10, vcc, v10, v14
	v_addc_co_u32_e32 v11, vcc, v11, v14, vcc
	v_xor_b32_e32 v16, v10, v14
	v_xor_b32_e32 v15, v11, v14
	v_mad_u64_u32 v[10:11], s[4:5], v16, v9, 0
	v_mul_hi_u32 v12, v16, v7
	v_add_co_u32_e32 v17, vcc, v12, v10
	v_addc_co_u32_e32 v18, vcc, 0, v11, vcc
	v_mad_u64_u32 v[12:13], s[4:5], v15, v7, 0
	v_add_co_u32_e32 v7, vcc, v17, v12
	v_mad_u64_u32 v[10:11], s[4:5], v15, v9, 0
	v_addc_co_u32_e32 v7, vcc, v18, v13, vcc
	v_addc_co_u32_e32 v9, vcc, 0, v11, vcc
	v_add_co_u32_e32 v7, vcc, v7, v10
	v_addc_co_u32_e32 v9, vcc, 0, v9, vcc
	v_mul_lo_u32 v12, s41, v7
	v_mul_lo_u32 v9, s40, v9
	v_mad_u64_u32 v[10:11], s[4:5], s40, v7, 0
	v_add3_u32 v9, v11, v9, v12
	v_sub_u32_e32 v11, v15, v9
	v_mov_b32_e32 v12, s41
	v_sub_co_u32_e32 v10, vcc, v16, v10
	v_subb_co_u32_e64 v11, s[4:5], v11, v12, vcc
	v_subrev_co_u32_e64 v12, s[4:5], s40, v10
	v_subbrev_co_u32_e64 v11, s[4:5], 0, v11, s[4:5]
	v_cmp_le_u32_e64 s[4:5], s41, v11
	v_subb_co_u32_e32 v9, vcc, v15, v9, vcc
	v_cndmask_b32_e64 v13, 0, -1, s[4:5]
	v_cmp_le_u32_e64 s[4:5], s40, v12
	v_cmp_le_u32_e32 vcc, s41, v9
	v_cndmask_b32_e64 v12, 0, -1, s[4:5]
	v_cmp_eq_u32_e64 s[4:5], s41, v11
	v_cndmask_b32_e64 v15, 0, -1, vcc
	v_cmp_le_u32_e32 vcc, s40, v10
	v_cndmask_b32_e64 v11, v13, v12, s[4:5]
	v_cndmask_b32_e64 v10, 0, -1, vcc
	v_cmp_eq_u32_e32 vcc, s41, v9
	v_add_co_u32_e64 v12, s[4:5], 2, v7
	v_add_co_u32_e64 v13, s[4:5], 1, v7
	v_cndmask_b32_e32 v9, v15, v10, vcc
	v_cmp_ne_u32_e32 vcc, 0, v11
	v_cndmask_b32_e32 v10, v13, v12, vcc
	v_cmp_ne_u32_e32 vcc, 0, v9
	v_cndmask_b32_e32 v7, v7, v10, vcc
	v_xor_b32_e32 v9, s38, v14
	v_xor_b32_e32 v7, v7, v9
	v_sub_co_u32_e32 v12, vcc, v7, v9
                                        ; implicit-def: $vgpr10_vgpr11
.LBB2_30:                               ;   in Loop: Header=BB2_20 Depth=1
	s_andn2_saveexec_b64 s[4:5], s[36:37]
	s_cbranch_execz .LBB2_18
; %bb.31:                               ;   in Loop: Header=BB2_20 Depth=1
	v_cvt_f32_u32_e32 v7, s33
	s_sub_i32 s26, 0, s33
	v_rcp_iflag_f32_e32 v7, v7
	v_mul_f32_e32 v7, 0x4f7ffffe, v7
	v_cvt_u32_f32_e32 v7, v7
	v_mul_lo_u32 v9, s26, v7
	v_mul_hi_u32 v9, v7, v9
	v_add_u32_e32 v7, v7, v9
	v_mul_hi_u32 v7, v10, v7
	v_mul_lo_u32 v9, v7, s33
	v_sub_u32_e32 v9, v10, v9
	v_add_u32_e32 v11, 1, v7
	v_subrev_u32_e32 v10, s33, v9
	v_cmp_le_u32_e32 vcc, s33, v9
	v_cndmask_b32_e32 v9, v9, v10, vcc
	v_cndmask_b32_e32 v7, v7, v11, vcc
	v_add_u32_e32 v10, 1, v7
	v_cmp_le_u32_e32 vcc, s33, v9
	v_cndmask_b32_e32 v12, v7, v10, vcc
	s_branch .LBB2_18
.LBB2_32:
	s_or_b64 exec, exec, s[6:7]
; %bb.33:
	s_barrier
	s_and_saveexec_b64 s[2:3], s[0:1]
	s_cbranch_execz .LBB2_36
; %bb.34:
	v_mad_u64_u32 v[4:5], s[0:1], s20, v0, 0
	v_mov_b32_e32 v6, v5
	v_mad_u64_u32 v[6:7], s[0:1], s21, v0, v[6:7]
	v_mov_b32_e32 v5, v6
	;; [unrolled: 2-line block ×3, first 2 shown]
	v_lshlrev_b64 v[4:5], 2, v[4:5]
	v_mad_u64_u32 v[8:9], s[0:1], s21, v2, v[8:9]
	v_mov_b32_e32 v3, s17
	v_add_co_u32_e32 v4, vcc, s16, v4
	v_mov_b32_e32 v7, v8
	v_addc_co_u32_e32 v5, vcc, v3, v5, vcc
	v_lshlrev_b64 v[6:7], 2, v[6:7]
	v_lshl_add_u32 v3, v0, 2, 0
	v_lshlrev_b32_e32 v8, 2, v2
	s_mov_b64 s[0:1], 0
.LBB2_35:                               ; =>This Inner Loop Header: Depth=1
	ds_read_b32 v9, v3
	v_add_co_u32_e32 v0, vcc, v0, v2
	v_addc_co_u32_e32 v1, vcc, 0, v1, vcc
	s_waitcnt lgkmcnt(0)
	global_atomic_add_f32 v[4:5], v9, off
	v_cmp_le_i64_e32 vcc, s[18:19], v[0:1]
	s_or_b64 s[0:1], vcc, s[0:1]
	v_add_co_u32_e32 v4, vcc, v4, v6
	v_add_u32_e32 v3, v3, v8
	v_addc_co_u32_e32 v5, vcc, v5, v7, vcc
	s_andn2_b64 exec, exec, s[0:1]
	s_cbranch_execnz .LBB2_35
.LBB2_36:
	s_endpgm
	.section	.rodata,"a",@progbits
	.p2align	6, 0x0
	.amdhsa_kernel _ZN2at4cuda17kernelHistogram1DIfhlLi1ELi2ELin1ELNS0_23CUDAHistogramMemoryTypeE0EZNS0_21CUDA_tensor_histogramIfhLb1EEEbNS_6TensorES4_S4_lNS_14AccumulateTypeIT0_Lb1EE4typeES8_NS0_13TensorArgTypeES9_S9_EUllE0_EEvNS0_6detail10TensorInfoIT_T1_EESF_NSC_IKS6_SE_EElS8_S8_SE_T6_
		.amdhsa_group_segment_fixed_size 0
		.amdhsa_private_segment_fixed_size 0
		.amdhsa_kernarg_size 1544
		.amdhsa_user_sgpr_count 6
		.amdhsa_user_sgpr_private_segment_buffer 1
		.amdhsa_user_sgpr_dispatch_ptr 0
		.amdhsa_user_sgpr_queue_ptr 0
		.amdhsa_user_sgpr_kernarg_segment_ptr 1
		.amdhsa_user_sgpr_dispatch_id 0
		.amdhsa_user_sgpr_flat_scratch_init 0
		.amdhsa_user_sgpr_kernarg_preload_length 0
		.amdhsa_user_sgpr_kernarg_preload_offset 0
		.amdhsa_user_sgpr_private_segment_size 0
		.amdhsa_uses_dynamic_stack 0
		.amdhsa_system_sgpr_private_segment_wavefront_offset 0
		.amdhsa_system_sgpr_workgroup_id_x 1
		.amdhsa_system_sgpr_workgroup_id_y 0
		.amdhsa_system_sgpr_workgroup_id_z 0
		.amdhsa_system_sgpr_workgroup_info 0
		.amdhsa_system_vgpr_workitem_id 0
		.amdhsa_next_free_vgpr 23
		.amdhsa_next_free_sgpr 46
		.amdhsa_accum_offset 24
		.amdhsa_reserve_vcc 1
		.amdhsa_reserve_flat_scratch 0
		.amdhsa_float_round_mode_32 0
		.amdhsa_float_round_mode_16_64 0
		.amdhsa_float_denorm_mode_32 3
		.amdhsa_float_denorm_mode_16_64 3
		.amdhsa_dx10_clamp 1
		.amdhsa_ieee_mode 1
		.amdhsa_fp16_overflow 0
		.amdhsa_tg_split 0
		.amdhsa_exception_fp_ieee_invalid_op 0
		.amdhsa_exception_fp_denorm_src 0
		.amdhsa_exception_fp_ieee_div_zero 0
		.amdhsa_exception_fp_ieee_overflow 0
		.amdhsa_exception_fp_ieee_underflow 0
		.amdhsa_exception_fp_ieee_inexact 0
		.amdhsa_exception_int_div_zero 0
	.end_amdhsa_kernel
	.section	.text._ZN2at4cuda17kernelHistogram1DIfhlLi1ELi2ELin1ELNS0_23CUDAHistogramMemoryTypeE0EZNS0_21CUDA_tensor_histogramIfhLb1EEEbNS_6TensorES4_S4_lNS_14AccumulateTypeIT0_Lb1EE4typeES8_NS0_13TensorArgTypeES9_S9_EUllE0_EEvNS0_6detail10TensorInfoIT_T1_EESF_NSC_IKS6_SE_EElS8_S8_SE_T6_,"axG",@progbits,_ZN2at4cuda17kernelHistogram1DIfhlLi1ELi2ELin1ELNS0_23CUDAHistogramMemoryTypeE0EZNS0_21CUDA_tensor_histogramIfhLb1EEEbNS_6TensorES4_S4_lNS_14AccumulateTypeIT0_Lb1EE4typeES8_NS0_13TensorArgTypeES9_S9_EUllE0_EEvNS0_6detail10TensorInfoIT_T1_EESF_NSC_IKS6_SE_EElS8_S8_SE_T6_,comdat
.Lfunc_end2:
	.size	_ZN2at4cuda17kernelHistogram1DIfhlLi1ELi2ELin1ELNS0_23CUDAHistogramMemoryTypeE0EZNS0_21CUDA_tensor_histogramIfhLb1EEEbNS_6TensorES4_S4_lNS_14AccumulateTypeIT0_Lb1EE4typeES8_NS0_13TensorArgTypeES9_S9_EUllE0_EEvNS0_6detail10TensorInfoIT_T1_EESF_NSC_IKS6_SE_EElS8_S8_SE_T6_, .Lfunc_end2-_ZN2at4cuda17kernelHistogram1DIfhlLi1ELi2ELin1ELNS0_23CUDAHistogramMemoryTypeE0EZNS0_21CUDA_tensor_histogramIfhLb1EEEbNS_6TensorES4_S4_lNS_14AccumulateTypeIT0_Lb1EE4typeES8_NS0_13TensorArgTypeES9_S9_EUllE0_EEvNS0_6detail10TensorInfoIT_T1_EESF_NSC_IKS6_SE_EElS8_S8_SE_T6_
                                        ; -- End function
	.section	.AMDGPU.csdata,"",@progbits
; Kernel info:
; codeLenInByte = 3364
; NumSgprs: 50
; NumVgprs: 23
; NumAgprs: 0
; TotalNumVgprs: 23
; ScratchSize: 0
; MemoryBound: 0
; FloatMode: 240
; IeeeMode: 1
; LDSByteSize: 0 bytes/workgroup (compile time only)
; SGPRBlocks: 6
; VGPRBlocks: 2
; NumSGPRsForWavesPerEU: 50
; NumVGPRsForWavesPerEU: 23
; AccumOffset: 24
; Occupancy: 8
; WaveLimiterHint : 1
; COMPUTE_PGM_RSRC2:SCRATCH_EN: 0
; COMPUTE_PGM_RSRC2:USER_SGPR: 6
; COMPUTE_PGM_RSRC2:TRAP_HANDLER: 0
; COMPUTE_PGM_RSRC2:TGID_X_EN: 1
; COMPUTE_PGM_RSRC2:TGID_Y_EN: 0
; COMPUTE_PGM_RSRC2:TGID_Z_EN: 0
; COMPUTE_PGM_RSRC2:TIDIG_COMP_CNT: 0
; COMPUTE_PGM_RSRC3_GFX90A:ACCUM_OFFSET: 5
; COMPUTE_PGM_RSRC3_GFX90A:TG_SPLIT: 0
	.section	.text._ZN2at4cuda17kernelHistogram1DIfhlLi1ELi2ELin1ELNS0_23CUDAHistogramMemoryTypeE1EZNS0_21CUDA_tensor_histogramIfhLb1EEEbNS_6TensorES4_S4_lNS_14AccumulateTypeIT0_Lb1EE4typeES8_NS0_13TensorArgTypeES9_S9_EUllE0_EEvNS0_6detail10TensorInfoIT_T1_EESF_NSC_IKS6_SE_EElS8_S8_SE_T6_,"axG",@progbits,_ZN2at4cuda17kernelHistogram1DIfhlLi1ELi2ELin1ELNS0_23CUDAHistogramMemoryTypeE1EZNS0_21CUDA_tensor_histogramIfhLb1EEEbNS_6TensorES4_S4_lNS_14AccumulateTypeIT0_Lb1EE4typeES8_NS0_13TensorArgTypeES9_S9_EUllE0_EEvNS0_6detail10TensorInfoIT_T1_EESF_NSC_IKS6_SE_EElS8_S8_SE_T6_,comdat
	.protected	_ZN2at4cuda17kernelHistogram1DIfhlLi1ELi2ELin1ELNS0_23CUDAHistogramMemoryTypeE1EZNS0_21CUDA_tensor_histogramIfhLb1EEEbNS_6TensorES4_S4_lNS_14AccumulateTypeIT0_Lb1EE4typeES8_NS0_13TensorArgTypeES9_S9_EUllE0_EEvNS0_6detail10TensorInfoIT_T1_EESF_NSC_IKS6_SE_EElS8_S8_SE_T6_ ; -- Begin function _ZN2at4cuda17kernelHistogram1DIfhlLi1ELi2ELin1ELNS0_23CUDAHistogramMemoryTypeE1EZNS0_21CUDA_tensor_histogramIfhLb1EEEbNS_6TensorES4_S4_lNS_14AccumulateTypeIT0_Lb1EE4typeES8_NS0_13TensorArgTypeES9_S9_EUllE0_EEvNS0_6detail10TensorInfoIT_T1_EESF_NSC_IKS6_SE_EElS8_S8_SE_T6_
	.globl	_ZN2at4cuda17kernelHistogram1DIfhlLi1ELi2ELin1ELNS0_23CUDAHistogramMemoryTypeE1EZNS0_21CUDA_tensor_histogramIfhLb1EEEbNS_6TensorES4_S4_lNS_14AccumulateTypeIT0_Lb1EE4typeES8_NS0_13TensorArgTypeES9_S9_EUllE0_EEvNS0_6detail10TensorInfoIT_T1_EESF_NSC_IKS6_SE_EElS8_S8_SE_T6_
	.p2align	8
	.type	_ZN2at4cuda17kernelHistogram1DIfhlLi1ELi2ELin1ELNS0_23CUDAHistogramMemoryTypeE1EZNS0_21CUDA_tensor_histogramIfhLb1EEEbNS_6TensorES4_S4_lNS_14AccumulateTypeIT0_Lb1EE4typeES8_NS0_13TensorArgTypeES9_S9_EUllE0_EEvNS0_6detail10TensorInfoIT_T1_EESF_NSC_IKS6_SE_EElS8_S8_SE_T6_,@function
_ZN2at4cuda17kernelHistogram1DIfhlLi1ELi2ELin1ELNS0_23CUDAHistogramMemoryTypeE1EZNS0_21CUDA_tensor_histogramIfhLb1EEEbNS_6TensorES4_S4_lNS_14AccumulateTypeIT0_Lb1EE4typeES8_NS0_13TensorArgTypeES9_S9_EUllE0_EEvNS0_6detail10TensorInfoIT_T1_EESF_NSC_IKS6_SE_EElS8_S8_SE_T6_: ; @_ZN2at4cuda17kernelHistogram1DIfhlLi1ELi2ELin1ELNS0_23CUDAHistogramMemoryTypeE1EZNS0_21CUDA_tensor_histogramIfhLb1EEEbNS_6TensorES4_S4_lNS_14AccumulateTypeIT0_Lb1EE4typeES8_NS0_13TensorArgTypeES9_S9_EUllE0_EEvNS0_6detail10TensorInfoIT_T1_EESF_NSC_IKS6_SE_EElS8_S8_SE_T6_
; %bb.0:
	s_load_dword s2, s[4:5], 0x514
	s_load_dwordx8 s[8:15], s[4:5], 0x4e0
	s_add_u32 s0, s4, 0x508
	s_addc_u32 s1, s5, 0
	v_mov_b32_e32 v2, 0
	s_waitcnt lgkmcnt(0)
	s_and_b32 s2, s2, 0xffff
	s_mul_i32 s6, s6, s2
	v_add_u32_e32 v0, s6, v0
	v_mov_b32_e32 v1, v2
	v_cmp_gt_i64_e32 vcc, s[14:15], v[0:1]
	s_and_saveexec_b64 s[6:7], vcc
	s_cbranch_execz .LBB3_16
; %bb.1:
	s_load_dword s3, s[4:5], 0x4d8
	s_load_dwordx2 s[6:7], s[4:5], 0x0
	s_load_dwordx2 s[16:17], s[4:5], 0xd0
	s_load_dword s24, s[0:1], 0x0
	s_add_u32 s22, s4, 0x340
	s_addc_u32 s23, s5, 0
	s_mov_b32 s38, 0
	s_waitcnt lgkmcnt(0)
	s_cmp_gt_i32 s3, 1
	s_cselect_b64 s[0:1], -1, 0
	s_sub_u32 s33, s12, s10
	s_subb_u32 s36, s13, s11
	s_mul_i32 s37, s24, s2
	s_add_i32 s39, s3, 1
	s_add_i32 s2, s3, -1
	s_mov_b32 s3, s38
	s_load_dwordx2 s[18:19], s[4:5], 0x410
	s_load_dwordx2 s[20:21], s[4:5], 0x340
	s_lshl_b64 s[2:3], s[2:3], 3
	s_add_u32 s2, s2, s22
	s_addc_u32 s3, s3, s23
	s_add_u32 s4, s2, 8
	v_cndmask_b32_e64 v3, 0, 1, s[0:1]
	s_addc_u32 s5, s3, 0
	s_mov_b64 s[22:23], 0
	v_cmp_ne_u32_e64 s[0:1], 1, v3
	v_mov_b32_e32 v10, 1.0
	s_branch .LBB3_4
.LBB3_2:                                ;   in Loop: Header=BB3_4 Depth=1
	s_or_b64 exec, exec, s[2:3]
	v_ashrrev_i32_e32 v7, 31, v6
	v_cmp_eq_u64_e32 vcc, s[8:9], v[6:7]
	v_cndmask_b32_e64 v3, 0, 1, vcc
	v_sub_co_u32_e32 v3, vcc, v6, v3
	v_subbrev_co_u32_e32 v4, vcc, 0, v7, vcc
	v_mul_lo_u32 v6, v4, s16
	v_mul_lo_u32 v7, v3, s17
	v_mad_u64_u32 v[4:5], s[2:3], v3, s16, 0
	v_add3_u32 v5, v5, v7, v6
	v_lshlrev_b64 v[4:5], 2, v[4:5]
	v_mov_b32_e32 v3, s7
	v_add_co_u32_e32 v4, vcc, s6, v4
	v_addc_co_u32_e32 v5, vcc, v3, v5, vcc
	global_atomic_add_f32 v[4:5], v10, off
.LBB3_3:                                ;   in Loop: Header=BB3_4 Depth=1
	s_or_b64 exec, exec, s[24:25]
	v_mov_b32_e32 v3, s38
	v_add_co_u32_e32 v0, vcc, s37, v0
	v_addc_co_u32_e32 v1, vcc, v1, v3, vcc
	v_cmp_le_i64_e32 vcc, s[14:15], v[0:1]
	s_or_b64 s[22:23], vcc, s[22:23]
	s_andn2_b64 exec, exec, s[22:23]
	s_cbranch_execz .LBB3_16
.LBB3_4:                                ; =>This Loop Header: Depth=1
                                        ;     Child Loop BB3_5 Depth 2
	s_and_b64 vcc, exec, s[0:1]
	v_pk_mov_b32 v[4:5], 0, 0
	s_mov_b64 s[24:25], s[4:5]
	s_mov_b32 s40, s39
	v_pk_mov_b32 v[6:7], v[0:1], v[0:1] op_sel:[0,1]
	v_pk_mov_b32 v[8:9], v[0:1], v[0:1] op_sel:[0,1]
	s_cbranch_vccnz .LBB3_11
.LBB3_5:                                ;   Parent Loop BB3_4 Depth=1
                                        ; =>  This Inner Loop Header: Depth=2
	s_load_dwordx2 s[26:27], s[24:25], 0x0
                                        ; implicit-def: $vgpr8_vgpr9
	s_waitcnt lgkmcnt(0)
	v_or_b32_e32 v3, s27, v7
	v_cmp_ne_u64_e32 vcc, 0, v[2:3]
	s_and_saveexec_b64 s[2:3], vcc
	s_xor_b64 s[28:29], exec, s[2:3]
	s_cbranch_execz .LBB3_7
; %bb.6:                                ;   in Loop: Header=BB3_5 Depth=2
	s_ashr_i32 s30, s27, 31
	s_add_u32 s2, s26, s30
	s_mov_b32 s31, s30
	s_addc_u32 s3, s27, s30
	s_xor_b64 s[34:35], s[2:3], s[30:31]
	v_cvt_f32_u32_e32 v3, s34
	v_cvt_f32_u32_e32 v8, s35
	s_sub_u32 s2, 0, s34
	s_subb_u32 s3, 0, s35
	v_mac_f32_e32 v3, 0x4f800000, v8
	v_rcp_f32_e32 v3, v3
	v_mul_f32_e32 v3, 0x5f7ffffc, v3
	v_mul_f32_e32 v8, 0x2f800000, v3
	v_trunc_f32_e32 v8, v8
	v_mac_f32_e32 v3, 0xcf800000, v8
	v_cvt_u32_f32_e32 v8, v8
	v_cvt_u32_f32_e32 v3, v3
	v_mul_lo_u32 v9, s2, v8
	v_mul_hi_u32 v12, s2, v3
	v_mul_lo_u32 v11, s3, v3
	v_add_u32_e32 v9, v12, v9
	v_mul_lo_u32 v13, s2, v3
	v_add_u32_e32 v9, v9, v11
	v_mul_lo_u32 v12, v3, v9
	v_mul_hi_u32 v14, v3, v13
	v_mul_hi_u32 v11, v3, v9
	v_add_co_u32_e32 v12, vcc, v14, v12
	v_addc_co_u32_e32 v11, vcc, 0, v11, vcc
	v_mul_hi_u32 v15, v8, v13
	v_mul_lo_u32 v13, v8, v13
	v_add_co_u32_e32 v12, vcc, v12, v13
	v_mul_hi_u32 v14, v8, v9
	v_addc_co_u32_e32 v11, vcc, v11, v15, vcc
	v_addc_co_u32_e32 v12, vcc, 0, v14, vcc
	v_mul_lo_u32 v9, v8, v9
	v_add_co_u32_e32 v9, vcc, v11, v9
	v_addc_co_u32_e32 v11, vcc, 0, v12, vcc
	v_add_co_u32_e32 v3, vcc, v3, v9
	v_addc_co_u32_e32 v8, vcc, v8, v11, vcc
	v_mul_lo_u32 v9, s2, v8
	v_mul_hi_u32 v11, s2, v3
	v_add_u32_e32 v9, v11, v9
	v_mul_lo_u32 v11, s3, v3
	v_add_u32_e32 v9, v9, v11
	v_mul_lo_u32 v12, s2, v3
	v_mul_hi_u32 v13, v8, v12
	v_mul_lo_u32 v14, v8, v12
	v_mul_lo_u32 v16, v3, v9
	v_mul_hi_u32 v12, v3, v12
	v_mul_hi_u32 v15, v3, v9
	v_add_co_u32_e32 v12, vcc, v12, v16
	v_addc_co_u32_e32 v15, vcc, 0, v15, vcc
	v_add_co_u32_e32 v12, vcc, v12, v14
	v_mul_hi_u32 v11, v8, v9
	v_addc_co_u32_e32 v12, vcc, v15, v13, vcc
	v_addc_co_u32_e32 v11, vcc, 0, v11, vcc
	v_mul_lo_u32 v9, v8, v9
	v_add_co_u32_e32 v9, vcc, v12, v9
	v_addc_co_u32_e32 v11, vcc, 0, v11, vcc
	v_add_co_u32_e32 v3, vcc, v3, v9
	v_addc_co_u32_e32 v11, vcc, v8, v11, vcc
	v_ashrrev_i32_e32 v14, 31, v7
	v_add_co_u32_e32 v8, vcc, v6, v14
	v_addc_co_u32_e32 v9, vcc, v7, v14, vcc
	v_xor_b32_e32 v16, v8, v14
	v_xor_b32_e32 v15, v9, v14
	v_mad_u64_u32 v[8:9], s[2:3], v16, v11, 0
	v_mul_hi_u32 v12, v16, v3
	v_add_co_u32_e32 v17, vcc, v12, v8
	v_addc_co_u32_e32 v18, vcc, 0, v9, vcc
	v_mad_u64_u32 v[12:13], s[2:3], v15, v3, 0
	v_add_co_u32_e32 v3, vcc, v17, v12
	v_mad_u64_u32 v[8:9], s[2:3], v15, v11, 0
	v_addc_co_u32_e32 v3, vcc, v18, v13, vcc
	v_addc_co_u32_e32 v9, vcc, 0, v9, vcc
	v_add_co_u32_e32 v3, vcc, v3, v8
	v_addc_co_u32_e32 v11, vcc, 0, v9, vcc
	v_mul_lo_u32 v12, s35, v3
	v_mul_lo_u32 v13, s34, v11
	v_mad_u64_u32 v[8:9], s[2:3], s34, v3, 0
	v_add3_u32 v9, v9, v13, v12
	v_sub_u32_e32 v12, v15, v9
	v_mov_b32_e32 v13, s35
	v_sub_co_u32_e32 v8, vcc, v16, v8
	v_subb_co_u32_e64 v12, s[2:3], v12, v13, vcc
	v_subrev_co_u32_e64 v13, s[2:3], s34, v8
	v_subbrev_co_u32_e64 v12, s[2:3], 0, v12, s[2:3]
	v_cmp_le_u32_e64 s[2:3], s35, v12
	v_cndmask_b32_e64 v16, 0, -1, s[2:3]
	v_cmp_le_u32_e64 s[2:3], s34, v13
	v_cndmask_b32_e64 v13, 0, -1, s[2:3]
	v_cmp_eq_u32_e64 s[2:3], s35, v12
	v_cndmask_b32_e64 v12, v16, v13, s[2:3]
	v_add_co_u32_e64 v13, s[2:3], 2, v3
	v_subb_co_u32_e32 v9, vcc, v15, v9, vcc
	v_addc_co_u32_e64 v16, s[2:3], 0, v11, s[2:3]
	v_cmp_le_u32_e32 vcc, s35, v9
	v_add_co_u32_e64 v17, s[2:3], 1, v3
	v_cndmask_b32_e64 v15, 0, -1, vcc
	v_cmp_le_u32_e32 vcc, s34, v8
	v_addc_co_u32_e64 v18, s[2:3], 0, v11, s[2:3]
	v_cndmask_b32_e64 v8, 0, -1, vcc
	v_cmp_eq_u32_e32 vcc, s35, v9
	v_cmp_ne_u32_e64 s[2:3], 0, v12
	v_cndmask_b32_e32 v8, v15, v8, vcc
	v_cmp_ne_u32_e32 vcc, 0, v8
	v_cndmask_b32_e64 v9, v17, v13, s[2:3]
	v_cndmask_b32_e64 v12, v18, v16, s[2:3]
	v_cndmask_b32_e32 v3, v3, v9, vcc
	v_xor_b32_e32 v9, s30, v14
	v_cndmask_b32_e32 v8, v11, v12, vcc
	v_xor_b32_e32 v3, v3, v9
	v_xor_b32_e32 v11, v8, v9
	v_sub_co_u32_e32 v8, vcc, v3, v9
	v_subb_co_u32_e32 v9, vcc, v11, v9, vcc
.LBB3_7:                                ;   in Loop: Header=BB3_5 Depth=2
	s_andn2_saveexec_b64 s[2:3], s[28:29]
	s_cbranch_execz .LBB3_9
; %bb.8:                                ;   in Loop: Header=BB3_5 Depth=2
	v_cvt_f32_u32_e32 v3, s26
	s_sub_i32 s28, 0, s26
	v_rcp_iflag_f32_e32 v3, v3
	v_mul_f32_e32 v3, 0x4f7ffffe, v3
	v_cvt_u32_f32_e32 v3, v3
	v_mul_lo_u32 v8, s28, v3
	v_mul_hi_u32 v8, v3, v8
	v_add_u32_e32 v3, v3, v8
	v_mul_hi_u32 v3, v6, v3
	v_mul_lo_u32 v8, v3, s26
	v_sub_u32_e32 v8, v6, v8
	v_add_u32_e32 v9, 1, v3
	v_subrev_u32_e32 v11, s26, v8
	v_cmp_le_u32_e32 vcc, s26, v8
	v_cndmask_b32_e32 v8, v8, v11, vcc
	v_cndmask_b32_e32 v3, v3, v9, vcc
	v_add_u32_e32 v9, 1, v3
	v_cmp_le_u32_e32 vcc, s26, v8
	v_cndmask_b32_e32 v8, v3, v9, vcc
	v_mov_b32_e32 v9, v2
.LBB3_9:                                ;   in Loop: Header=BB3_5 Depth=2
	s_or_b64 exec, exec, s[2:3]
	v_mad_u64_u32 v[12:13], s[2:3], v8, s26, 0
	s_load_dwordx2 s[2:3], s[24:25], 0xc8
	v_mul_lo_u32 v3, v9, s26
	v_mul_lo_u32 v11, v8, s27
	v_add3_u32 v3, v13, v11, v3
	v_sub_co_u32_e32 v6, vcc, v6, v12
	s_add_i32 s40, s40, -1
	v_subb_co_u32_e32 v3, vcc, v7, v3, vcc
	s_add_u32 s24, s24, -8
	s_waitcnt lgkmcnt(0)
	v_mul_lo_u32 v3, s2, v3
	v_mul_lo_u32 v7, s3, v6
	v_mad_u64_u32 v[4:5], s[2:3], s2, v6, v[4:5]
	s_addc_u32 s25, s25, -1
	s_cmp_gt_u32 s40, 2
	v_add3_u32 v5, v7, v5, v3
	s_cbranch_scc0 .LBB3_11
; %bb.10:                               ;   in Loop: Header=BB3_5 Depth=2
	v_pk_mov_b32 v[6:7], v[8:9], v[8:9] op_sel:[0,1]
	s_branch .LBB3_5
.LBB3_11:                               ;   in Loop: Header=BB3_4 Depth=1
	s_waitcnt lgkmcnt(0)
	v_pk_mov_b32 v[6:7], s[20:21], s[20:21] op_sel:[0,1]
	v_mad_u64_u32 v[6:7], s[2:3], s18, v8, v[6:7]
	v_mul_lo_u32 v3, s18, v9
	v_mul_lo_u32 v8, s19, v8
	v_add3_u32 v3, v8, v7, v3
	v_add_co_u32_e32 v4, vcc, v6, v4
	v_addc_co_u32_e32 v5, vcc, v3, v5, vcc
	global_load_ubyte v3, v[4:5], off
	v_mov_b32_e32 v5, s38
	s_waitcnt vmcnt(0)
	v_and_b32_e32 v4, 0xffff, v3
	v_cmp_le_i64_e32 vcc, s[10:11], v[4:5]
	v_cmp_ge_i64_e64 s[2:3], s[12:13], v[4:5]
	s_and_b64 s[2:3], vcc, s[2:3]
	s_and_saveexec_b64 s[24:25], s[2:3]
	s_cbranch_execz .LBB3_3
; %bb.12:                               ;   in Loop: Header=BB3_4 Depth=1
	v_mov_b32_e32 v3, s11
	v_subrev_co_u32_e32 v4, vcc, s10, v4
	v_subb_co_u32_e32 v3, vcc, 0, v3, vcc
	v_mul_lo_u32 v3, v3, s8
	v_mul_lo_u32 v6, v4, s9
	v_mad_u64_u32 v[4:5], s[2:3], v4, s8, 0
	v_add3_u32 v5, v5, v6, v3
	v_or_b32_e32 v3, s36, v5
	v_cmp_ne_u64_e32 vcc, 0, v[2:3]
                                        ; implicit-def: $vgpr6_vgpr7
	s_and_saveexec_b64 s[2:3], vcc
	s_xor_b64 s[26:27], exec, s[2:3]
	s_cbranch_execz .LBB3_14
; %bb.13:                               ;   in Loop: Header=BB3_4 Depth=1
	s_ashr_i32 s28, s36, 31
	s_add_u32 s2, s33, s28
	s_mov_b32 s29, s28
	s_addc_u32 s3, s36, s28
	s_xor_b64 s[30:31], s[2:3], s[28:29]
	v_cvt_f32_u32_e32 v3, s30
	v_cvt_f32_u32_e32 v6, s31
	s_sub_u32 s2, 0, s30
	s_subb_u32 s3, 0, s31
	v_mac_f32_e32 v3, 0x4f800000, v6
	v_rcp_f32_e32 v3, v3
	v_mul_f32_e32 v3, 0x5f7ffffc, v3
	v_mul_f32_e32 v6, 0x2f800000, v3
	v_trunc_f32_e32 v6, v6
	v_mac_f32_e32 v3, 0xcf800000, v6
	v_cvt_u32_f32_e32 v6, v6
	v_cvt_u32_f32_e32 v3, v3
	v_mul_lo_u32 v7, s2, v6
	v_mul_hi_u32 v9, s2, v3
	v_mul_lo_u32 v8, s3, v3
	v_add_u32_e32 v7, v9, v7
	v_mul_lo_u32 v11, s2, v3
	v_add_u32_e32 v7, v7, v8
	v_mul_lo_u32 v9, v3, v7
	v_mul_hi_u32 v12, v3, v11
	v_mul_hi_u32 v8, v3, v7
	v_add_co_u32_e32 v9, vcc, v12, v9
	v_addc_co_u32_e32 v8, vcc, 0, v8, vcc
	v_mul_hi_u32 v13, v6, v11
	v_mul_lo_u32 v11, v6, v11
	v_add_co_u32_e32 v9, vcc, v9, v11
	v_mul_hi_u32 v12, v6, v7
	v_addc_co_u32_e32 v8, vcc, v8, v13, vcc
	v_addc_co_u32_e32 v9, vcc, 0, v12, vcc
	v_mul_lo_u32 v7, v6, v7
	v_add_co_u32_e32 v7, vcc, v8, v7
	v_addc_co_u32_e32 v8, vcc, 0, v9, vcc
	v_add_co_u32_e32 v3, vcc, v3, v7
	v_addc_co_u32_e32 v6, vcc, v6, v8, vcc
	v_mul_lo_u32 v7, s2, v6
	v_mul_hi_u32 v8, s2, v3
	v_add_u32_e32 v7, v8, v7
	v_mul_lo_u32 v8, s3, v3
	v_add_u32_e32 v7, v7, v8
	v_mul_lo_u32 v9, s2, v3
	v_mul_hi_u32 v11, v6, v9
	v_mul_lo_u32 v12, v6, v9
	v_mul_lo_u32 v14, v3, v7
	v_mul_hi_u32 v9, v3, v9
	v_mul_hi_u32 v13, v3, v7
	v_add_co_u32_e32 v9, vcc, v9, v14
	v_addc_co_u32_e32 v13, vcc, 0, v13, vcc
	v_add_co_u32_e32 v9, vcc, v9, v12
	v_mul_hi_u32 v8, v6, v7
	v_addc_co_u32_e32 v9, vcc, v13, v11, vcc
	v_addc_co_u32_e32 v8, vcc, 0, v8, vcc
	v_mul_lo_u32 v7, v6, v7
	v_add_co_u32_e32 v7, vcc, v9, v7
	v_addc_co_u32_e32 v8, vcc, 0, v8, vcc
	v_add_co_u32_e32 v3, vcc, v3, v7
	v_addc_co_u32_e32 v6, vcc, v6, v8, vcc
	v_ashrrev_i32_e32 v8, 31, v5
	v_add_co_u32_e32 v4, vcc, v4, v8
	v_addc_co_u32_e32 v5, vcc, v5, v8, vcc
	v_xor_b32_e32 v11, v4, v8
	v_xor_b32_e32 v9, v5, v8
	v_mad_u64_u32 v[4:5], s[2:3], v11, v6, 0
	v_mul_hi_u32 v7, v11, v3
	v_add_co_u32_e32 v12, vcc, v7, v4
	v_addc_co_u32_e32 v13, vcc, 0, v5, vcc
	v_mad_u64_u32 v[4:5], s[2:3], v9, v6, 0
	v_mad_u64_u32 v[6:7], s[2:3], v9, v3, 0
	v_add_co_u32_e32 v3, vcc, v12, v6
	v_addc_co_u32_e32 v3, vcc, v13, v7, vcc
	v_addc_co_u32_e32 v5, vcc, 0, v5, vcc
	v_add_co_u32_e32 v3, vcc, v3, v4
	v_addc_co_u32_e32 v4, vcc, 0, v5, vcc
	v_mul_lo_u32 v6, s31, v3
	v_mul_lo_u32 v7, s30, v4
	v_mad_u64_u32 v[4:5], s[2:3], s30, v3, 0
	v_add3_u32 v5, v5, v7, v6
	v_sub_u32_e32 v6, v9, v5
	v_mov_b32_e32 v7, s31
	v_sub_co_u32_e32 v4, vcc, v11, v4
	v_subb_co_u32_e64 v6, s[2:3], v6, v7, vcc
	v_subrev_co_u32_e64 v7, s[2:3], s30, v4
	v_subbrev_co_u32_e64 v6, s[2:3], 0, v6, s[2:3]
	v_cmp_le_u32_e64 s[2:3], s31, v6
	v_subb_co_u32_e32 v5, vcc, v9, v5, vcc
	v_cndmask_b32_e64 v11, 0, -1, s[2:3]
	v_cmp_le_u32_e64 s[2:3], s30, v7
	v_cmp_le_u32_e32 vcc, s31, v5
	v_cndmask_b32_e64 v7, 0, -1, s[2:3]
	v_cmp_eq_u32_e64 s[2:3], s31, v6
	v_cndmask_b32_e64 v9, 0, -1, vcc
	v_cmp_le_u32_e32 vcc, s30, v4
	v_cndmask_b32_e64 v6, v11, v7, s[2:3]
	v_cndmask_b32_e64 v4, 0, -1, vcc
	v_cmp_eq_u32_e32 vcc, s31, v5
	v_add_co_u32_e64 v7, s[2:3], 2, v3
	v_add_co_u32_e64 v11, s[2:3], 1, v3
	v_cndmask_b32_e32 v4, v9, v4, vcc
	v_cmp_ne_u32_e32 vcc, 0, v6
	v_cndmask_b32_e32 v5, v11, v7, vcc
	v_cmp_ne_u32_e32 vcc, 0, v4
	v_cndmask_b32_e32 v3, v3, v5, vcc
	v_xor_b32_e32 v4, s28, v8
	v_xor_b32_e32 v3, v3, v4
	v_sub_co_u32_e32 v6, vcc, v3, v4
                                        ; implicit-def: $vgpr4_vgpr5
.LBB3_14:                               ;   in Loop: Header=BB3_4 Depth=1
	s_andn2_saveexec_b64 s[2:3], s[26:27]
	s_cbranch_execz .LBB3_2
; %bb.15:                               ;   in Loop: Header=BB3_4 Depth=1
	v_cvt_f32_u32_e32 v3, s33
	s_sub_i32 s26, 0, s33
	v_rcp_iflag_f32_e32 v3, v3
	v_mul_f32_e32 v3, 0x4f7ffffe, v3
	v_cvt_u32_f32_e32 v3, v3
	v_mul_lo_u32 v5, s26, v3
	v_mul_hi_u32 v5, v3, v5
	v_add_u32_e32 v3, v3, v5
	v_mul_hi_u32 v3, v4, v3
	v_mul_lo_u32 v5, v3, s33
	v_sub_u32_e32 v4, v4, v5
	v_add_u32_e32 v6, 1, v3
	v_subrev_u32_e32 v5, s33, v4
	v_cmp_le_u32_e32 vcc, s33, v4
	v_cndmask_b32_e32 v4, v4, v5, vcc
	v_cndmask_b32_e32 v3, v3, v6, vcc
	v_add_u32_e32 v5, 1, v3
	v_cmp_le_u32_e32 vcc, s33, v4
	v_cndmask_b32_e32 v6, v3, v5, vcc
	s_branch .LBB3_2
.LBB3_16:
	s_endpgm
	.section	.rodata,"a",@progbits
	.p2align	6, 0x0
	.amdhsa_kernel _ZN2at4cuda17kernelHistogram1DIfhlLi1ELi2ELin1ELNS0_23CUDAHistogramMemoryTypeE1EZNS0_21CUDA_tensor_histogramIfhLb1EEEbNS_6TensorES4_S4_lNS_14AccumulateTypeIT0_Lb1EE4typeES8_NS0_13TensorArgTypeES9_S9_EUllE0_EEvNS0_6detail10TensorInfoIT_T1_EESF_NSC_IKS6_SE_EElS8_S8_SE_T6_
		.amdhsa_group_segment_fixed_size 0
		.amdhsa_private_segment_fixed_size 0
		.amdhsa_kernarg_size 1544
		.amdhsa_user_sgpr_count 6
		.amdhsa_user_sgpr_private_segment_buffer 1
		.amdhsa_user_sgpr_dispatch_ptr 0
		.amdhsa_user_sgpr_queue_ptr 0
		.amdhsa_user_sgpr_kernarg_segment_ptr 1
		.amdhsa_user_sgpr_dispatch_id 0
		.amdhsa_user_sgpr_flat_scratch_init 0
		.amdhsa_user_sgpr_kernarg_preload_length 0
		.amdhsa_user_sgpr_kernarg_preload_offset 0
		.amdhsa_user_sgpr_private_segment_size 0
		.amdhsa_uses_dynamic_stack 0
		.amdhsa_system_sgpr_private_segment_wavefront_offset 0
		.amdhsa_system_sgpr_workgroup_id_x 1
		.amdhsa_system_sgpr_workgroup_id_y 0
		.amdhsa_system_sgpr_workgroup_id_z 0
		.amdhsa_system_sgpr_workgroup_info 0
		.amdhsa_system_vgpr_workitem_id 0
		.amdhsa_next_free_vgpr 19
		.amdhsa_next_free_sgpr 41
		.amdhsa_accum_offset 20
		.amdhsa_reserve_vcc 1
		.amdhsa_reserve_flat_scratch 0
		.amdhsa_float_round_mode_32 0
		.amdhsa_float_round_mode_16_64 0
		.amdhsa_float_denorm_mode_32 3
		.amdhsa_float_denorm_mode_16_64 3
		.amdhsa_dx10_clamp 1
		.amdhsa_ieee_mode 1
		.amdhsa_fp16_overflow 0
		.amdhsa_tg_split 0
		.amdhsa_exception_fp_ieee_invalid_op 0
		.amdhsa_exception_fp_denorm_src 0
		.amdhsa_exception_fp_ieee_div_zero 0
		.amdhsa_exception_fp_ieee_overflow 0
		.amdhsa_exception_fp_ieee_underflow 0
		.amdhsa_exception_fp_ieee_inexact 0
		.amdhsa_exception_int_div_zero 0
	.end_amdhsa_kernel
	.section	.text._ZN2at4cuda17kernelHistogram1DIfhlLi1ELi2ELin1ELNS0_23CUDAHistogramMemoryTypeE1EZNS0_21CUDA_tensor_histogramIfhLb1EEEbNS_6TensorES4_S4_lNS_14AccumulateTypeIT0_Lb1EE4typeES8_NS0_13TensorArgTypeES9_S9_EUllE0_EEvNS0_6detail10TensorInfoIT_T1_EESF_NSC_IKS6_SE_EElS8_S8_SE_T6_,"axG",@progbits,_ZN2at4cuda17kernelHistogram1DIfhlLi1ELi2ELin1ELNS0_23CUDAHistogramMemoryTypeE1EZNS0_21CUDA_tensor_histogramIfhLb1EEEbNS_6TensorES4_S4_lNS_14AccumulateTypeIT0_Lb1EE4typeES8_NS0_13TensorArgTypeES9_S9_EUllE0_EEvNS0_6detail10TensorInfoIT_T1_EESF_NSC_IKS6_SE_EElS8_S8_SE_T6_,comdat
.Lfunc_end3:
	.size	_ZN2at4cuda17kernelHistogram1DIfhlLi1ELi2ELin1ELNS0_23CUDAHistogramMemoryTypeE1EZNS0_21CUDA_tensor_histogramIfhLb1EEEbNS_6TensorES4_S4_lNS_14AccumulateTypeIT0_Lb1EE4typeES8_NS0_13TensorArgTypeES9_S9_EUllE0_EEvNS0_6detail10TensorInfoIT_T1_EESF_NSC_IKS6_SE_EElS8_S8_SE_T6_, .Lfunc_end3-_ZN2at4cuda17kernelHistogram1DIfhlLi1ELi2ELin1ELNS0_23CUDAHistogramMemoryTypeE1EZNS0_21CUDA_tensor_histogramIfhLb1EEEbNS_6TensorES4_S4_lNS_14AccumulateTypeIT0_Lb1EE4typeES8_NS0_13TensorArgTypeES9_S9_EUllE0_EEvNS0_6detail10TensorInfoIT_T1_EESF_NSC_IKS6_SE_EElS8_S8_SE_T6_
                                        ; -- End function
	.section	.AMDGPU.csdata,"",@progbits
; Kernel info:
; codeLenInByte = 2204
; NumSgprs: 45
; NumVgprs: 19
; NumAgprs: 0
; TotalNumVgprs: 19
; ScratchSize: 0
; MemoryBound: 0
; FloatMode: 240
; IeeeMode: 1
; LDSByteSize: 0 bytes/workgroup (compile time only)
; SGPRBlocks: 5
; VGPRBlocks: 2
; NumSGPRsForWavesPerEU: 45
; NumVGPRsForWavesPerEU: 19
; AccumOffset: 20
; Occupancy: 8
; WaveLimiterHint : 1
; COMPUTE_PGM_RSRC2:SCRATCH_EN: 0
; COMPUTE_PGM_RSRC2:USER_SGPR: 6
; COMPUTE_PGM_RSRC2:TRAP_HANDLER: 0
; COMPUTE_PGM_RSRC2:TGID_X_EN: 1
; COMPUTE_PGM_RSRC2:TGID_Y_EN: 0
; COMPUTE_PGM_RSRC2:TGID_Z_EN: 0
; COMPUTE_PGM_RSRC2:TIDIG_COMP_CNT: 0
; COMPUTE_PGM_RSRC3_GFX90A:ACCUM_OFFSET: 4
; COMPUTE_PGM_RSRC3_GFX90A:TG_SPLIT: 0
	.section	.text._ZN2at4cuda17kernelHistogram1DIlhlLi1ELi2ELin1ELNS0_23CUDAHistogramMemoryTypeE0EZNS0_21CUDA_tensor_histogramIlhLb0EEEbNS_6TensorES4_S4_lNS_14AccumulateTypeIT0_Lb1EE4typeES8_NS0_13TensorArgTypeES9_S9_EUllE_EEvNS0_6detail10TensorInfoIT_T1_EESF_NSC_IKS6_SE_EElS8_S8_SE_T6_,"axG",@progbits,_ZN2at4cuda17kernelHistogram1DIlhlLi1ELi2ELin1ELNS0_23CUDAHistogramMemoryTypeE0EZNS0_21CUDA_tensor_histogramIlhLb0EEEbNS_6TensorES4_S4_lNS_14AccumulateTypeIT0_Lb1EE4typeES8_NS0_13TensorArgTypeES9_S9_EUllE_EEvNS0_6detail10TensorInfoIT_T1_EESF_NSC_IKS6_SE_EElS8_S8_SE_T6_,comdat
	.protected	_ZN2at4cuda17kernelHistogram1DIlhlLi1ELi2ELin1ELNS0_23CUDAHistogramMemoryTypeE0EZNS0_21CUDA_tensor_histogramIlhLb0EEEbNS_6TensorES4_S4_lNS_14AccumulateTypeIT0_Lb1EE4typeES8_NS0_13TensorArgTypeES9_S9_EUllE_EEvNS0_6detail10TensorInfoIT_T1_EESF_NSC_IKS6_SE_EElS8_S8_SE_T6_ ; -- Begin function _ZN2at4cuda17kernelHistogram1DIlhlLi1ELi2ELin1ELNS0_23CUDAHistogramMemoryTypeE0EZNS0_21CUDA_tensor_histogramIlhLb0EEEbNS_6TensorES4_S4_lNS_14AccumulateTypeIT0_Lb1EE4typeES8_NS0_13TensorArgTypeES9_S9_EUllE_EEvNS0_6detail10TensorInfoIT_T1_EESF_NSC_IKS6_SE_EElS8_S8_SE_T6_
	.globl	_ZN2at4cuda17kernelHistogram1DIlhlLi1ELi2ELin1ELNS0_23CUDAHistogramMemoryTypeE0EZNS0_21CUDA_tensor_histogramIlhLb0EEEbNS_6TensorES4_S4_lNS_14AccumulateTypeIT0_Lb1EE4typeES8_NS0_13TensorArgTypeES9_S9_EUllE_EEvNS0_6detail10TensorInfoIT_T1_EESF_NSC_IKS6_SE_EElS8_S8_SE_T6_
	.p2align	8
	.type	_ZN2at4cuda17kernelHistogram1DIlhlLi1ELi2ELin1ELNS0_23CUDAHistogramMemoryTypeE0EZNS0_21CUDA_tensor_histogramIlhLb0EEEbNS_6TensorES4_S4_lNS_14AccumulateTypeIT0_Lb1EE4typeES8_NS0_13TensorArgTypeES9_S9_EUllE_EEvNS0_6detail10TensorInfoIT_T1_EESF_NSC_IKS6_SE_EElS8_S8_SE_T6_,@function
_ZN2at4cuda17kernelHistogram1DIlhlLi1ELi2ELin1ELNS0_23CUDAHistogramMemoryTypeE0EZNS0_21CUDA_tensor_histogramIlhLb0EEEbNS_6TensorES4_S4_lNS_14AccumulateTypeIT0_Lb1EE4typeES8_NS0_13TensorArgTypeES9_S9_EUllE_EEvNS0_6detail10TensorInfoIT_T1_EESF_NSC_IKS6_SE_EElS8_S8_SE_T6_: ; @_ZN2at4cuda17kernelHistogram1DIlhlLi1ELi2ELin1ELNS0_23CUDAHistogramMemoryTypeE0EZNS0_21CUDA_tensor_histogramIlhLb0EEEbNS_6TensorES4_S4_lNS_14AccumulateTypeIT0_Lb1EE4typeES8_NS0_13TensorArgTypeES9_S9_EUllE_EEvNS0_6detail10TensorInfoIT_T1_EESF_NSC_IKS6_SE_EElS8_S8_SE_T6_
; %bb.0:
	s_load_dwordx4 s[16:19], s[4:5], 0x0
	s_load_dwordx2 s[20:21], s[4:5], 0x500
	s_load_dwordx8 s[8:15], s[4:5], 0x4e0
	v_mov_b32_e32 v1, 0
	s_add_u32 s2, s4, 0x6a0
	s_waitcnt lgkmcnt(0)
	v_cmp_gt_i64_e64 s[0:1], s[18:19], v[0:1]
	v_cmp_le_i64_e32 vcc, s[18:19], v[0:1]
	s_addc_u32 s3, s5, 0
                                        ; implicit-def: $sgpr7
                                        ; implicit-def: $sgpr28
	s_and_saveexec_b64 s[22:23], vcc
	s_xor_b64 s[22:23], exec, s[22:23]
	s_cbranch_execz .LBB4_2
; %bb.1:
	s_load_dword s7, s[2:3], 0xc
	s_waitcnt lgkmcnt(0)
	s_and_b32 s28, s7, 0xffff
.LBB4_2:
	s_or_saveexec_b64 s[26:27], s[22:23]
	s_load_dwordx2 s[22:23], s[4:5], 0xd0
	s_load_dwordx2 s[24:25], s[4:5], 0x5d0
	v_mov_b32_e32 v7, s7
	v_mov_b32_e32 v15, s28
	v_lshl_add_u32 v14, v0, 3, 0
	s_xor_b64 exec, exec, s[26:27]
	s_cbranch_execz .LBB4_6
; %bb.3:
	s_load_dword s7, s[2:3], 0xc
	s_mov_b32 s33, 0
	v_mov_b32_e32 v2, 0
	v_lshl_add_u32 v6, v0, 3, 0
	s_mov_b64 s[28:29], 0
	s_waitcnt lgkmcnt(0)
	s_and_b32 s30, s7, 0xffff
	s_lshl_b32 s31, s30, 3
	v_mov_b32_e32 v3, v2
	v_mov_b32_e32 v7, s33
	v_pk_mov_b32 v[4:5], v[0:1], v[0:1] op_sel:[0,1]
.LBB4_4:                                ; =>This Inner Loop Header: Depth=1
	v_add_co_u32_e32 v4, vcc, s30, v4
	v_addc_co_u32_e32 v5, vcc, v5, v7, vcc
	v_cmp_le_i64_e32 vcc, s[18:19], v[4:5]
	ds_write_b64 v6, v[2:3]
	s_or_b64 s[28:29], vcc, s[28:29]
	v_add_u32_e32 v6, s31, v6
	s_andn2_b64 exec, exec, s[28:29]
	s_cbranch_execnz .LBB4_4
; %bb.5:
	s_or_b64 exec, exec, s[28:29]
	v_mov_b32_e32 v7, s7
	v_mov_b32_e32 v15, s30
.LBB4_6:
	s_or_b64 exec, exec, s[26:27]
	v_mad_u64_u32 v[2:3], s[6:7], s6, v15, v[0:1]
	v_mov_b32_e32 v4, 0
	v_mov_b32_e32 v3, v4
	v_cmp_gt_i64_e32 vcc, s[14:15], v[2:3]
	s_waitcnt lgkmcnt(0)
	s_barrier
	s_and_saveexec_b64 s[6:7], vcc
	s_cbranch_execz .LBB4_22
; %bb.7:
	s_load_dword s30, s[4:5], 0x4d8
	s_load_dwordx2 s[26:27], s[4:5], 0x410
	s_load_dwordx2 s[28:29], s[4:5], 0x340
	s_load_dword s31, s[2:3], 0x0
	s_add_u32 s34, s4, 0x340
	s_addc_u32 s35, s5, 0
	s_waitcnt lgkmcnt(0)
	s_cmp_gt_i32 s30, 1
	s_cselect_b64 s[2:3], -1, 0
	s_sub_u32 s33, s12, s10
	s_subb_u32 s48, s13, s11
	v_mul_lo_u32 v6, s31, v15
	s_mov_b32 s31, 0
	s_add_i32 s49, s30, 1
	s_add_i32 s30, s30, -1
	s_lshl_b64 s[4:5], s[30:31], 3
	s_add_u32 s4, s4, s34
	s_addc_u32 s5, s5, s35
	s_add_u32 s34, s4, 8
	v_cndmask_b32_e64 v5, 0, 1, s[2:3]
	s_addc_u32 s35, s5, 0
	s_mov_b64 s[36:37], 0
	v_cmp_ne_u32_e64 s[2:3], 1, v5
	s_branch .LBB4_10
.LBB4_8:                                ;   in Loop: Header=BB4_10 Depth=1
	s_or_b64 exec, exec, s[4:5]
	v_mul_lo_u32 v5, v3, s24
	v_mul_lo_u32 v11, v2, s25
	v_mad_u64_u32 v[8:9], s[4:5], v2, s24, 0
	v_add3_u32 v9, v9, v11, v5
	v_lshlrev_b64 v[8:9], 3, v[8:9]
	v_mov_b32_e32 v5, s21
	v_add_co_u32_e32 v8, vcc, s20, v8
	v_addc_co_u32_e32 v9, vcc, v5, v9, vcc
	global_load_dwordx2 v[8:9], v[8:9], off
	v_ashrrev_i32_e32 v11, 31, v10
	v_cmp_eq_u64_e32 vcc, s[8:9], v[10:11]
	v_subbrev_co_u32_e32 v5, vcc, 0, v10, vcc
	v_lshl_add_u32 v5, v5, 3, 0
	s_waitcnt vmcnt(0)
	ds_add_u64 v5, v[8:9]
.LBB4_9:                                ;   in Loop: Header=BB4_10 Depth=1
	s_or_b64 exec, exec, s[38:39]
	v_add_co_u32_e32 v2, vcc, v2, v6
	v_addc_co_u32_e32 v3, vcc, 0, v3, vcc
	v_cmp_le_i64_e32 vcc, s[14:15], v[2:3]
	s_or_b64 s[36:37], vcc, s[36:37]
	s_andn2_b64 exec, exec, s[36:37]
	s_cbranch_execz .LBB4_22
.LBB4_10:                               ; =>This Loop Header: Depth=1
                                        ;     Child Loop BB4_11 Depth 2
	s_and_b64 vcc, exec, s[2:3]
	v_pk_mov_b32 v[8:9], 0, 0
	s_mov_b64 s[38:39], s[34:35]
	s_mov_b32 s30, s49
	v_pk_mov_b32 v[10:11], v[2:3], v[2:3] op_sel:[0,1]
	v_pk_mov_b32 v[12:13], v[2:3], v[2:3] op_sel:[0,1]
	s_cbranch_vccnz .LBB4_17
.LBB4_11:                               ;   Parent Loop BB4_10 Depth=1
                                        ; =>  This Inner Loop Header: Depth=2
	s_load_dwordx2 s[40:41], s[38:39], 0x0
                                        ; implicit-def: $vgpr12_vgpr13
	s_waitcnt lgkmcnt(0)
	v_or_b32_e32 v5, s41, v11
	v_cmp_ne_u64_e32 vcc, 0, v[4:5]
	s_and_saveexec_b64 s[4:5], vcc
	s_xor_b64 s[42:43], exec, s[4:5]
	s_cbranch_execz .LBB4_13
; %bb.12:                               ;   in Loop: Header=BB4_11 Depth=2
	s_ashr_i32 s44, s41, 31
	s_add_u32 s4, s40, s44
	s_mov_b32 s45, s44
	s_addc_u32 s5, s41, s44
	s_xor_b64 s[46:47], s[4:5], s[44:45]
	v_cvt_f32_u32_e32 v5, s46
	v_cvt_f32_u32_e32 v12, s47
	s_sub_u32 s4, 0, s46
	s_subb_u32 s5, 0, s47
	v_mac_f32_e32 v5, 0x4f800000, v12
	v_rcp_f32_e32 v5, v5
	v_mul_f32_e32 v5, 0x5f7ffffc, v5
	v_mul_f32_e32 v12, 0x2f800000, v5
	v_trunc_f32_e32 v12, v12
	v_mac_f32_e32 v5, 0xcf800000, v12
	v_cvt_u32_f32_e32 v12, v12
	v_cvt_u32_f32_e32 v5, v5
	v_mul_lo_u32 v13, s4, v12
	v_mul_hi_u32 v17, s4, v5
	v_mul_lo_u32 v16, s5, v5
	v_add_u32_e32 v13, v17, v13
	v_mul_lo_u32 v18, s4, v5
	v_add_u32_e32 v13, v13, v16
	v_mul_lo_u32 v17, v5, v13
	v_mul_hi_u32 v19, v5, v18
	v_mul_hi_u32 v16, v5, v13
	v_add_co_u32_e32 v17, vcc, v19, v17
	v_addc_co_u32_e32 v16, vcc, 0, v16, vcc
	v_mul_hi_u32 v20, v12, v18
	v_mul_lo_u32 v18, v12, v18
	v_add_co_u32_e32 v17, vcc, v17, v18
	v_mul_hi_u32 v19, v12, v13
	v_addc_co_u32_e32 v16, vcc, v16, v20, vcc
	v_addc_co_u32_e32 v17, vcc, 0, v19, vcc
	v_mul_lo_u32 v13, v12, v13
	v_add_co_u32_e32 v13, vcc, v16, v13
	v_addc_co_u32_e32 v16, vcc, 0, v17, vcc
	v_add_co_u32_e32 v5, vcc, v5, v13
	v_addc_co_u32_e32 v12, vcc, v12, v16, vcc
	v_mul_lo_u32 v13, s4, v12
	v_mul_hi_u32 v16, s4, v5
	v_add_u32_e32 v13, v16, v13
	v_mul_lo_u32 v16, s5, v5
	v_add_u32_e32 v13, v13, v16
	v_mul_lo_u32 v17, s4, v5
	v_mul_hi_u32 v18, v12, v17
	v_mul_lo_u32 v19, v12, v17
	v_mul_lo_u32 v21, v5, v13
	v_mul_hi_u32 v17, v5, v17
	v_mul_hi_u32 v20, v5, v13
	v_add_co_u32_e32 v17, vcc, v17, v21
	v_addc_co_u32_e32 v20, vcc, 0, v20, vcc
	v_add_co_u32_e32 v17, vcc, v17, v19
	v_mul_hi_u32 v16, v12, v13
	v_addc_co_u32_e32 v17, vcc, v20, v18, vcc
	v_addc_co_u32_e32 v16, vcc, 0, v16, vcc
	v_mul_lo_u32 v13, v12, v13
	v_add_co_u32_e32 v13, vcc, v17, v13
	v_addc_co_u32_e32 v16, vcc, 0, v16, vcc
	v_add_co_u32_e32 v5, vcc, v5, v13
	v_addc_co_u32_e32 v16, vcc, v12, v16, vcc
	v_ashrrev_i32_e32 v18, 31, v11
	v_add_co_u32_e32 v12, vcc, v10, v18
	v_addc_co_u32_e32 v13, vcc, v11, v18, vcc
	v_xor_b32_e32 v20, v12, v18
	v_xor_b32_e32 v19, v13, v18
	v_mad_u64_u32 v[12:13], s[4:5], v20, v16, 0
	v_mul_hi_u32 v17, v20, v5
	v_add_co_u32_e32 v21, vcc, v17, v12
	v_addc_co_u32_e32 v22, vcc, 0, v13, vcc
	v_mad_u64_u32 v[12:13], s[4:5], v19, v16, 0
	v_mad_u64_u32 v[16:17], s[4:5], v19, v5, 0
	v_add_co_u32_e32 v5, vcc, v21, v16
	v_addc_co_u32_e32 v5, vcc, v22, v17, vcc
	v_addc_co_u32_e32 v13, vcc, 0, v13, vcc
	v_add_co_u32_e32 v5, vcc, v5, v12
	v_addc_co_u32_e32 v16, vcc, 0, v13, vcc
	v_mul_lo_u32 v17, s47, v5
	v_mul_lo_u32 v21, s46, v16
	v_mad_u64_u32 v[12:13], s[4:5], s46, v5, 0
	v_add3_u32 v13, v13, v21, v17
	v_sub_u32_e32 v17, v19, v13
	v_mov_b32_e32 v21, s47
	v_sub_co_u32_e32 v12, vcc, v20, v12
	v_subb_co_u32_e64 v17, s[4:5], v17, v21, vcc
	v_subrev_co_u32_e64 v20, s[4:5], s46, v12
	v_subbrev_co_u32_e64 v17, s[4:5], 0, v17, s[4:5]
	v_cmp_le_u32_e64 s[4:5], s47, v17
	v_cndmask_b32_e64 v21, 0, -1, s[4:5]
	v_cmp_le_u32_e64 s[4:5], s46, v20
	v_cndmask_b32_e64 v20, 0, -1, s[4:5]
	v_cmp_eq_u32_e64 s[4:5], s47, v17
	v_cndmask_b32_e64 v17, v21, v20, s[4:5]
	v_add_co_u32_e64 v20, s[4:5], 2, v5
	v_subb_co_u32_e32 v13, vcc, v19, v13, vcc
	v_addc_co_u32_e64 v21, s[4:5], 0, v16, s[4:5]
	v_cmp_le_u32_e32 vcc, s47, v13
	v_add_co_u32_e64 v22, s[4:5], 1, v5
	v_cndmask_b32_e64 v19, 0, -1, vcc
	v_cmp_le_u32_e32 vcc, s46, v12
	v_addc_co_u32_e64 v23, s[4:5], 0, v16, s[4:5]
	v_cndmask_b32_e64 v12, 0, -1, vcc
	v_cmp_eq_u32_e32 vcc, s47, v13
	v_cmp_ne_u32_e64 s[4:5], 0, v17
	v_cndmask_b32_e32 v12, v19, v12, vcc
	v_cmp_ne_u32_e32 vcc, 0, v12
	v_cndmask_b32_e64 v13, v22, v20, s[4:5]
	v_cndmask_b32_e64 v17, v23, v21, s[4:5]
	v_cndmask_b32_e32 v5, v5, v13, vcc
	v_xor_b32_e32 v13, s44, v18
	v_cndmask_b32_e32 v12, v16, v17, vcc
	v_xor_b32_e32 v5, v5, v13
	v_xor_b32_e32 v16, v12, v13
	v_sub_co_u32_e32 v12, vcc, v5, v13
	v_subb_co_u32_e32 v13, vcc, v16, v13, vcc
.LBB4_13:                               ;   in Loop: Header=BB4_11 Depth=2
	s_andn2_saveexec_b64 s[4:5], s[42:43]
	s_cbranch_execz .LBB4_15
; %bb.14:                               ;   in Loop: Header=BB4_11 Depth=2
	v_cvt_f32_u32_e32 v5, s40
	s_sub_i32 s42, 0, s40
	v_rcp_iflag_f32_e32 v5, v5
	v_mul_f32_e32 v5, 0x4f7ffffe, v5
	v_cvt_u32_f32_e32 v5, v5
	v_mul_lo_u32 v12, s42, v5
	v_mul_hi_u32 v12, v5, v12
	v_add_u32_e32 v5, v5, v12
	v_mul_hi_u32 v5, v10, v5
	v_mul_lo_u32 v12, v5, s40
	v_sub_u32_e32 v12, v10, v12
	v_add_u32_e32 v13, 1, v5
	v_subrev_u32_e32 v16, s40, v12
	v_cmp_le_u32_e32 vcc, s40, v12
	v_cndmask_b32_e32 v12, v12, v16, vcc
	v_cndmask_b32_e32 v5, v5, v13, vcc
	v_add_u32_e32 v13, 1, v5
	v_cmp_le_u32_e32 vcc, s40, v12
	v_cndmask_b32_e32 v12, v5, v13, vcc
	v_mov_b32_e32 v13, v4
.LBB4_15:                               ;   in Loop: Header=BB4_11 Depth=2
	s_or_b64 exec, exec, s[4:5]
	v_mad_u64_u32 v[16:17], s[4:5], v12, s40, 0
	s_load_dwordx2 s[4:5], s[38:39], 0xc8
	v_mul_lo_u32 v5, v13, s40
	v_mul_lo_u32 v18, v12, s41
	v_add3_u32 v5, v17, v18, v5
	v_sub_co_u32_e32 v10, vcc, v10, v16
	s_add_i32 s30, s30, -1
	v_subb_co_u32_e32 v5, vcc, v11, v5, vcc
	s_add_u32 s38, s38, -8
	s_waitcnt lgkmcnt(0)
	v_mul_lo_u32 v5, s4, v5
	v_mul_lo_u32 v11, s5, v10
	v_mad_u64_u32 v[8:9], s[4:5], s4, v10, v[8:9]
	s_addc_u32 s39, s39, -1
	s_cmp_gt_u32 s30, 2
	v_add3_u32 v9, v11, v9, v5
	s_cbranch_scc0 .LBB4_17
; %bb.16:                               ;   in Loop: Header=BB4_11 Depth=2
	v_pk_mov_b32 v[10:11], v[12:13], v[12:13] op_sel:[0,1]
	s_branch .LBB4_11
.LBB4_17:                               ;   in Loop: Header=BB4_10 Depth=1
	v_pk_mov_b32 v[10:11], s[28:29], s[28:29] op_sel:[0,1]
	v_mad_u64_u32 v[10:11], s[4:5], s26, v12, v[10:11]
	v_mul_lo_u32 v5, s26, v13
	v_mul_lo_u32 v12, s27, v12
	v_add3_u32 v5, v12, v11, v5
	v_add_co_u32_e32 v8, vcc, v10, v8
	v_addc_co_u32_e32 v9, vcc, v5, v9, vcc
	global_load_ubyte v5, v[8:9], off
	v_mov_b32_e32 v9, s31
	s_waitcnt vmcnt(0)
	v_and_b32_e32 v8, 0xffff, v5
	v_cmp_le_i64_e32 vcc, s[10:11], v[8:9]
	v_cmp_ge_i64_e64 s[4:5], s[12:13], v[8:9]
	s_and_b64 s[4:5], vcc, s[4:5]
	s_and_saveexec_b64 s[38:39], s[4:5]
	s_cbranch_execz .LBB4_9
; %bb.18:                               ;   in Loop: Header=BB4_10 Depth=1
	v_mov_b32_e32 v5, s11
	v_subrev_co_u32_e32 v8, vcc, s10, v8
	v_subb_co_u32_e32 v5, vcc, 0, v5, vcc
	v_mul_lo_u32 v5, v5, s8
	v_mul_lo_u32 v10, v8, s9
	v_mad_u64_u32 v[8:9], s[4:5], v8, s8, 0
	v_add3_u32 v9, v9, v10, v5
	v_or_b32_e32 v5, s48, v9
	v_cmp_ne_u64_e32 vcc, 0, v[4:5]
                                        ; implicit-def: $vgpr10_vgpr11
	s_and_saveexec_b64 s[4:5], vcc
	s_xor_b64 s[40:41], exec, s[4:5]
	s_cbranch_execz .LBB4_20
; %bb.19:                               ;   in Loop: Header=BB4_10 Depth=1
	s_ashr_i32 s42, s48, 31
	s_add_u32 s4, s33, s42
	s_mov_b32 s43, s42
	s_addc_u32 s5, s48, s42
	s_xor_b64 s[44:45], s[4:5], s[42:43]
	v_cvt_f32_u32_e32 v5, s44
	v_cvt_f32_u32_e32 v10, s45
	s_sub_u32 s4, 0, s44
	s_subb_u32 s5, 0, s45
	v_mac_f32_e32 v5, 0x4f800000, v10
	v_rcp_f32_e32 v5, v5
	v_mul_f32_e32 v5, 0x5f7ffffc, v5
	v_mul_f32_e32 v10, 0x2f800000, v5
	v_trunc_f32_e32 v10, v10
	v_mac_f32_e32 v5, 0xcf800000, v10
	v_cvt_u32_f32_e32 v10, v10
	v_cvt_u32_f32_e32 v5, v5
	v_mul_lo_u32 v11, s4, v10
	v_mul_hi_u32 v13, s4, v5
	v_mul_lo_u32 v12, s5, v5
	v_add_u32_e32 v11, v13, v11
	v_mul_lo_u32 v16, s4, v5
	v_add_u32_e32 v11, v11, v12
	v_mul_lo_u32 v13, v5, v11
	v_mul_hi_u32 v17, v5, v16
	v_mul_hi_u32 v12, v5, v11
	v_add_co_u32_e32 v13, vcc, v17, v13
	v_addc_co_u32_e32 v12, vcc, 0, v12, vcc
	v_mul_hi_u32 v18, v10, v16
	v_mul_lo_u32 v16, v10, v16
	v_add_co_u32_e32 v13, vcc, v13, v16
	v_mul_hi_u32 v17, v10, v11
	v_addc_co_u32_e32 v12, vcc, v12, v18, vcc
	v_addc_co_u32_e32 v13, vcc, 0, v17, vcc
	v_mul_lo_u32 v11, v10, v11
	v_add_co_u32_e32 v11, vcc, v12, v11
	v_addc_co_u32_e32 v12, vcc, 0, v13, vcc
	v_add_co_u32_e32 v5, vcc, v5, v11
	v_addc_co_u32_e32 v10, vcc, v10, v12, vcc
	v_mul_lo_u32 v11, s4, v10
	v_mul_hi_u32 v12, s4, v5
	v_add_u32_e32 v11, v12, v11
	v_mul_lo_u32 v12, s5, v5
	v_add_u32_e32 v11, v11, v12
	v_mul_lo_u32 v13, s4, v5
	v_mul_hi_u32 v16, v10, v13
	v_mul_lo_u32 v17, v10, v13
	v_mul_lo_u32 v19, v5, v11
	v_mul_hi_u32 v13, v5, v13
	v_mul_hi_u32 v18, v5, v11
	v_add_co_u32_e32 v13, vcc, v13, v19
	v_addc_co_u32_e32 v18, vcc, 0, v18, vcc
	v_add_co_u32_e32 v13, vcc, v13, v17
	v_mul_hi_u32 v12, v10, v11
	v_addc_co_u32_e32 v13, vcc, v18, v16, vcc
	v_addc_co_u32_e32 v12, vcc, 0, v12, vcc
	v_mul_lo_u32 v11, v10, v11
	v_add_co_u32_e32 v11, vcc, v13, v11
	v_addc_co_u32_e32 v12, vcc, 0, v12, vcc
	v_add_co_u32_e32 v5, vcc, v5, v11
	v_addc_co_u32_e32 v10, vcc, v10, v12, vcc
	v_ashrrev_i32_e32 v12, 31, v9
	v_add_co_u32_e32 v8, vcc, v8, v12
	v_addc_co_u32_e32 v9, vcc, v9, v12, vcc
	v_xor_b32_e32 v16, v8, v12
	v_xor_b32_e32 v13, v9, v12
	v_mad_u64_u32 v[8:9], s[4:5], v16, v10, 0
	v_mul_hi_u32 v11, v16, v5
	v_add_co_u32_e32 v17, vcc, v11, v8
	v_addc_co_u32_e32 v18, vcc, 0, v9, vcc
	v_mad_u64_u32 v[8:9], s[4:5], v13, v10, 0
	v_mad_u64_u32 v[10:11], s[4:5], v13, v5, 0
	v_add_co_u32_e32 v5, vcc, v17, v10
	v_addc_co_u32_e32 v5, vcc, v18, v11, vcc
	v_addc_co_u32_e32 v9, vcc, 0, v9, vcc
	v_add_co_u32_e32 v5, vcc, v5, v8
	v_addc_co_u32_e32 v8, vcc, 0, v9, vcc
	v_mul_lo_u32 v10, s45, v5
	v_mul_lo_u32 v11, s44, v8
	v_mad_u64_u32 v[8:9], s[4:5], s44, v5, 0
	v_add3_u32 v9, v9, v11, v10
	v_sub_u32_e32 v10, v13, v9
	v_mov_b32_e32 v11, s45
	v_sub_co_u32_e32 v8, vcc, v16, v8
	v_subb_co_u32_e64 v10, s[4:5], v10, v11, vcc
	v_subrev_co_u32_e64 v11, s[4:5], s44, v8
	v_subbrev_co_u32_e64 v10, s[4:5], 0, v10, s[4:5]
	v_cmp_le_u32_e64 s[4:5], s45, v10
	v_subb_co_u32_e32 v9, vcc, v13, v9, vcc
	v_cndmask_b32_e64 v16, 0, -1, s[4:5]
	v_cmp_le_u32_e64 s[4:5], s44, v11
	v_cmp_le_u32_e32 vcc, s45, v9
	v_cndmask_b32_e64 v11, 0, -1, s[4:5]
	v_cmp_eq_u32_e64 s[4:5], s45, v10
	v_cndmask_b32_e64 v13, 0, -1, vcc
	v_cmp_le_u32_e32 vcc, s44, v8
	v_cndmask_b32_e64 v10, v16, v11, s[4:5]
	v_cndmask_b32_e64 v8, 0, -1, vcc
	v_cmp_eq_u32_e32 vcc, s45, v9
	v_add_co_u32_e64 v11, s[4:5], 2, v5
	v_add_co_u32_e64 v16, s[4:5], 1, v5
	v_cndmask_b32_e32 v8, v13, v8, vcc
	v_cmp_ne_u32_e32 vcc, 0, v10
	v_cndmask_b32_e32 v9, v16, v11, vcc
	v_cmp_ne_u32_e32 vcc, 0, v8
	v_cndmask_b32_e32 v5, v5, v9, vcc
	v_xor_b32_e32 v8, s42, v12
	v_xor_b32_e32 v5, v5, v8
	v_sub_co_u32_e32 v10, vcc, v5, v8
                                        ; implicit-def: $vgpr8_vgpr9
.LBB4_20:                               ;   in Loop: Header=BB4_10 Depth=1
	s_andn2_saveexec_b64 s[4:5], s[40:41]
	s_cbranch_execz .LBB4_8
; %bb.21:                               ;   in Loop: Header=BB4_10 Depth=1
	v_cvt_f32_u32_e32 v5, s33
	s_sub_i32 s30, 0, s33
	v_rcp_iflag_f32_e32 v5, v5
	v_mul_f32_e32 v5, 0x4f7ffffe, v5
	v_cvt_u32_f32_e32 v5, v5
	v_mul_lo_u32 v9, s30, v5
	v_mul_hi_u32 v9, v5, v9
	v_add_u32_e32 v5, v5, v9
	v_mul_hi_u32 v5, v8, v5
	v_mul_lo_u32 v9, v5, s33
	v_sub_u32_e32 v8, v8, v9
	v_add_u32_e32 v10, 1, v5
	v_subrev_u32_e32 v9, s33, v8
	v_cmp_le_u32_e32 vcc, s33, v8
	v_cndmask_b32_e32 v8, v8, v9, vcc
	v_cndmask_b32_e32 v5, v5, v10, vcc
	v_add_u32_e32 v9, 1, v5
	v_cmp_le_u32_e32 vcc, s33, v8
	v_cndmask_b32_e32 v10, v5, v9, vcc
	s_branch .LBB4_8
.LBB4_22:
	s_or_b64 exec, exec, s[6:7]
; %bb.23:
	s_waitcnt lgkmcnt(0)
	s_barrier
	s_and_saveexec_b64 s[2:3], s[0:1]
	s_cbranch_execz .LBB4_26
; %bb.24:
	v_mad_u64_u32 v[4:5], s[0:1], s22, v0, 0
	v_mov_b32_e32 v6, v5
	v_and_b32_e32 v2, 0xffff, v7
	v_mad_u64_u32 v[6:7], s[0:1], s23, v0, v[6:7]
	v_mov_b32_e32 v5, v6
	v_mad_u64_u32 v[6:7], s[0:1], s22, v2, 0
	v_mov_b32_e32 v8, v7
	v_lshlrev_b64 v[4:5], 3, v[4:5]
	v_mad_u64_u32 v[8:9], s[0:1], s23, v2, v[8:9]
	v_mov_b32_e32 v3, s17
	v_add_co_u32_e32 v4, vcc, s16, v4
	v_mov_b32_e32 v7, v8
	v_addc_co_u32_e32 v5, vcc, v3, v5, vcc
	v_lshlrev_b64 v[6:7], 3, v[6:7]
	v_lshlrev_b32_e32 v3, 3, v15
	s_mov_b64 s[0:1], 0
.LBB4_25:                               ; =>This Inner Loop Header: Depth=1
	ds_read_b64 v[8:9], v14
	v_add_co_u32_e32 v0, vcc, v0, v2
	v_addc_co_u32_e32 v1, vcc, 0, v1, vcc
	s_waitcnt lgkmcnt(0)
	global_atomic_add_x2 v[4:5], v[8:9], off
	v_cmp_le_i64_e32 vcc, s[18:19], v[0:1]
	s_or_b64 s[0:1], vcc, s[0:1]
	v_add_co_u32_e32 v4, vcc, v4, v6
	v_add_u32_e32 v14, v14, v3
	v_addc_co_u32_e32 v5, vcc, v5, v7, vcc
	s_andn2_b64 exec, exec, s[0:1]
	s_cbranch_execnz .LBB4_25
.LBB4_26:
	s_endpgm
	.section	.rodata,"a",@progbits
	.p2align	6, 0x0
	.amdhsa_kernel _ZN2at4cuda17kernelHistogram1DIlhlLi1ELi2ELin1ELNS0_23CUDAHistogramMemoryTypeE0EZNS0_21CUDA_tensor_histogramIlhLb0EEEbNS_6TensorES4_S4_lNS_14AccumulateTypeIT0_Lb1EE4typeES8_NS0_13TensorArgTypeES9_S9_EUllE_EEvNS0_6detail10TensorInfoIT_T1_EESF_NSC_IKS6_SE_EElS8_S8_SE_T6_
		.amdhsa_group_segment_fixed_size 0
		.amdhsa_private_segment_fixed_size 0
		.amdhsa_kernarg_size 1952
		.amdhsa_user_sgpr_count 6
		.amdhsa_user_sgpr_private_segment_buffer 1
		.amdhsa_user_sgpr_dispatch_ptr 0
		.amdhsa_user_sgpr_queue_ptr 0
		.amdhsa_user_sgpr_kernarg_segment_ptr 1
		.amdhsa_user_sgpr_dispatch_id 0
		.amdhsa_user_sgpr_flat_scratch_init 0
		.amdhsa_user_sgpr_kernarg_preload_length 0
		.amdhsa_user_sgpr_kernarg_preload_offset 0
		.amdhsa_user_sgpr_private_segment_size 0
		.amdhsa_uses_dynamic_stack 0
		.amdhsa_system_sgpr_private_segment_wavefront_offset 0
		.amdhsa_system_sgpr_workgroup_id_x 1
		.amdhsa_system_sgpr_workgroup_id_y 0
		.amdhsa_system_sgpr_workgroup_id_z 0
		.amdhsa_system_sgpr_workgroup_info 0
		.amdhsa_system_vgpr_workitem_id 0
		.amdhsa_next_free_vgpr 24
		.amdhsa_next_free_sgpr 50
		.amdhsa_accum_offset 24
		.amdhsa_reserve_vcc 1
		.amdhsa_reserve_flat_scratch 0
		.amdhsa_float_round_mode_32 0
		.amdhsa_float_round_mode_16_64 0
		.amdhsa_float_denorm_mode_32 3
		.amdhsa_float_denorm_mode_16_64 3
		.amdhsa_dx10_clamp 1
		.amdhsa_ieee_mode 1
		.amdhsa_fp16_overflow 0
		.amdhsa_tg_split 0
		.amdhsa_exception_fp_ieee_invalid_op 0
		.amdhsa_exception_fp_denorm_src 0
		.amdhsa_exception_fp_ieee_div_zero 0
		.amdhsa_exception_fp_ieee_overflow 0
		.amdhsa_exception_fp_ieee_underflow 0
		.amdhsa_exception_fp_ieee_inexact 0
		.amdhsa_exception_int_div_zero 0
	.end_amdhsa_kernel
	.section	.text._ZN2at4cuda17kernelHistogram1DIlhlLi1ELi2ELin1ELNS0_23CUDAHistogramMemoryTypeE0EZNS0_21CUDA_tensor_histogramIlhLb0EEEbNS_6TensorES4_S4_lNS_14AccumulateTypeIT0_Lb1EE4typeES8_NS0_13TensorArgTypeES9_S9_EUllE_EEvNS0_6detail10TensorInfoIT_T1_EESF_NSC_IKS6_SE_EElS8_S8_SE_T6_,"axG",@progbits,_ZN2at4cuda17kernelHistogram1DIlhlLi1ELi2ELin1ELNS0_23CUDAHistogramMemoryTypeE0EZNS0_21CUDA_tensor_histogramIlhLb0EEEbNS_6TensorES4_S4_lNS_14AccumulateTypeIT0_Lb1EE4typeES8_NS0_13TensorArgTypeES9_S9_EUllE_EEvNS0_6detail10TensorInfoIT_T1_EESF_NSC_IKS6_SE_EElS8_S8_SE_T6_,comdat
.Lfunc_end4:
	.size	_ZN2at4cuda17kernelHistogram1DIlhlLi1ELi2ELin1ELNS0_23CUDAHistogramMemoryTypeE0EZNS0_21CUDA_tensor_histogramIlhLb0EEEbNS_6TensorES4_S4_lNS_14AccumulateTypeIT0_Lb1EE4typeES8_NS0_13TensorArgTypeES9_S9_EUllE_EEvNS0_6detail10TensorInfoIT_T1_EESF_NSC_IKS6_SE_EElS8_S8_SE_T6_, .Lfunc_end4-_ZN2at4cuda17kernelHistogram1DIlhlLi1ELi2ELin1ELNS0_23CUDAHistogramMemoryTypeE0EZNS0_21CUDA_tensor_histogramIlhLb0EEEbNS_6TensorES4_S4_lNS_14AccumulateTypeIT0_Lb1EE4typeES8_NS0_13TensorArgTypeES9_S9_EUllE_EEvNS0_6detail10TensorInfoIT_T1_EESF_NSC_IKS6_SE_EElS8_S8_SE_T6_
                                        ; -- End function
	.section	.AMDGPU.csdata,"",@progbits
; Kernel info:
; codeLenInByte = 2564
; NumSgprs: 54
; NumVgprs: 24
; NumAgprs: 0
; TotalNumVgprs: 24
; ScratchSize: 0
; MemoryBound: 0
; FloatMode: 240
; IeeeMode: 1
; LDSByteSize: 0 bytes/workgroup (compile time only)
; SGPRBlocks: 6
; VGPRBlocks: 2
; NumSGPRsForWavesPerEU: 54
; NumVGPRsForWavesPerEU: 24
; AccumOffset: 24
; Occupancy: 8
; WaveLimiterHint : 1
; COMPUTE_PGM_RSRC2:SCRATCH_EN: 0
; COMPUTE_PGM_RSRC2:USER_SGPR: 6
; COMPUTE_PGM_RSRC2:TRAP_HANDLER: 0
; COMPUTE_PGM_RSRC2:TGID_X_EN: 1
; COMPUTE_PGM_RSRC2:TGID_Y_EN: 0
; COMPUTE_PGM_RSRC2:TGID_Z_EN: 0
; COMPUTE_PGM_RSRC2:TIDIG_COMP_CNT: 0
; COMPUTE_PGM_RSRC3_GFX90A:ACCUM_OFFSET: 5
; COMPUTE_PGM_RSRC3_GFX90A:TG_SPLIT: 0
	.section	.text._ZN2at4cuda17kernelHistogram1DIlhlLi1ELi2ELin1ELNS0_23CUDAHistogramMemoryTypeE1EZNS0_21CUDA_tensor_histogramIlhLb0EEEbNS_6TensorES4_S4_lNS_14AccumulateTypeIT0_Lb1EE4typeES8_NS0_13TensorArgTypeES9_S9_EUllE_EEvNS0_6detail10TensorInfoIT_T1_EESF_NSC_IKS6_SE_EElS8_S8_SE_T6_,"axG",@progbits,_ZN2at4cuda17kernelHistogram1DIlhlLi1ELi2ELin1ELNS0_23CUDAHistogramMemoryTypeE1EZNS0_21CUDA_tensor_histogramIlhLb0EEEbNS_6TensorES4_S4_lNS_14AccumulateTypeIT0_Lb1EE4typeES8_NS0_13TensorArgTypeES9_S9_EUllE_EEvNS0_6detail10TensorInfoIT_T1_EESF_NSC_IKS6_SE_EElS8_S8_SE_T6_,comdat
	.protected	_ZN2at4cuda17kernelHistogram1DIlhlLi1ELi2ELin1ELNS0_23CUDAHistogramMemoryTypeE1EZNS0_21CUDA_tensor_histogramIlhLb0EEEbNS_6TensorES4_S4_lNS_14AccumulateTypeIT0_Lb1EE4typeES8_NS0_13TensorArgTypeES9_S9_EUllE_EEvNS0_6detail10TensorInfoIT_T1_EESF_NSC_IKS6_SE_EElS8_S8_SE_T6_ ; -- Begin function _ZN2at4cuda17kernelHistogram1DIlhlLi1ELi2ELin1ELNS0_23CUDAHistogramMemoryTypeE1EZNS0_21CUDA_tensor_histogramIlhLb0EEEbNS_6TensorES4_S4_lNS_14AccumulateTypeIT0_Lb1EE4typeES8_NS0_13TensorArgTypeES9_S9_EUllE_EEvNS0_6detail10TensorInfoIT_T1_EESF_NSC_IKS6_SE_EElS8_S8_SE_T6_
	.globl	_ZN2at4cuda17kernelHistogram1DIlhlLi1ELi2ELin1ELNS0_23CUDAHistogramMemoryTypeE1EZNS0_21CUDA_tensor_histogramIlhLb0EEEbNS_6TensorES4_S4_lNS_14AccumulateTypeIT0_Lb1EE4typeES8_NS0_13TensorArgTypeES9_S9_EUllE_EEvNS0_6detail10TensorInfoIT_T1_EESF_NSC_IKS6_SE_EElS8_S8_SE_T6_
	.p2align	8
	.type	_ZN2at4cuda17kernelHistogram1DIlhlLi1ELi2ELin1ELNS0_23CUDAHistogramMemoryTypeE1EZNS0_21CUDA_tensor_histogramIlhLb0EEEbNS_6TensorES4_S4_lNS_14AccumulateTypeIT0_Lb1EE4typeES8_NS0_13TensorArgTypeES9_S9_EUllE_EEvNS0_6detail10TensorInfoIT_T1_EESF_NSC_IKS6_SE_EElS8_S8_SE_T6_,@function
_ZN2at4cuda17kernelHistogram1DIlhlLi1ELi2ELin1ELNS0_23CUDAHistogramMemoryTypeE1EZNS0_21CUDA_tensor_histogramIlhLb0EEEbNS_6TensorES4_S4_lNS_14AccumulateTypeIT0_Lb1EE4typeES8_NS0_13TensorArgTypeES9_S9_EUllE_EEvNS0_6detail10TensorInfoIT_T1_EESF_NSC_IKS6_SE_EElS8_S8_SE_T6_: ; @_ZN2at4cuda17kernelHistogram1DIlhlLi1ELi2ELin1ELNS0_23CUDAHistogramMemoryTypeE1EZNS0_21CUDA_tensor_histogramIlhLb0EEEbNS_6TensorES4_S4_lNS_14AccumulateTypeIT0_Lb1EE4typeES8_NS0_13TensorArgTypeES9_S9_EUllE_EEvNS0_6detail10TensorInfoIT_T1_EESF_NSC_IKS6_SE_EElS8_S8_SE_T6_
; %bb.0:
	s_load_dword s2, s[4:5], 0x6ac
	s_load_dwordx8 s[8:15], s[4:5], 0x4e0
	s_add_u32 s0, s4, 0x6a0
	s_addc_u32 s1, s5, 0
	v_mov_b32_e32 v2, 0
	s_waitcnt lgkmcnt(0)
	s_and_b32 s2, s2, 0xffff
	s_mul_i32 s6, s6, s2
	v_add_u32_e32 v0, s6, v0
	v_mov_b32_e32 v1, v2
	v_cmp_gt_i64_e32 vcc, s[14:15], v[0:1]
	s_and_saveexec_b64 s[6:7], vcc
	s_cbranch_execz .LBB5_16
; %bb.1:
	s_load_dwordx2 s[6:7], s[4:5], 0x5d0
	s_load_dwordx2 s[16:17], s[4:5], 0x500
	s_load_dword s3, s[4:5], 0x4d8
	s_load_dwordx2 s[18:19], s[4:5], 0x0
	s_load_dwordx2 s[20:21], s[4:5], 0xd0
	s_load_dword s28, s[0:1], 0x0
	s_add_u32 s26, s4, 0x340
	s_addc_u32 s27, s5, 0
	s_mov_b32 s42, 0
	s_waitcnt lgkmcnt(0)
	s_cmp_gt_i32 s3, 1
	s_cselect_b64 s[0:1], -1, 0
	s_sub_u32 s33, s12, s10
	s_subb_u32 s40, s13, s11
	s_mul_i32 s41, s28, s2
	s_add_i32 s43, s3, 1
	s_add_i32 s2, s3, -1
	s_mov_b32 s3, s42
	s_load_dwordx2 s[22:23], s[4:5], 0x410
	s_load_dwordx2 s[24:25], s[4:5], 0x340
	s_lshl_b64 s[2:3], s[2:3], 3
	s_add_u32 s2, s2, s26
	s_addc_u32 s3, s3, s27
	s_add_u32 s4, s2, 8
	v_cndmask_b32_e64 v3, 0, 1, s[0:1]
	s_addc_u32 s5, s3, 0
	s_mov_b64 s[26:27], 0
	v_cmp_ne_u32_e64 s[0:1], 1, v3
	s_branch .LBB5_4
.LBB5_2:                                ;   in Loop: Header=BB5_4 Depth=1
	s_or_b64 exec, exec, s[2:3]
	v_mul_lo_u32 v3, v1, s6
	v_mul_lo_u32 v7, v0, s7
	v_mad_u64_u32 v[4:5], s[2:3], v0, s6, 0
	v_add3_u32 v5, v5, v7, v3
	v_lshlrev_b64 v[4:5], 3, v[4:5]
	v_mov_b32_e32 v3, s17
	v_add_co_u32_e32 v4, vcc, s16, v4
	v_addc_co_u32_e32 v5, vcc, v3, v5, vcc
	global_load_dwordx2 v[4:5], v[4:5], off
	v_ashrrev_i32_e32 v7, 31, v6
	v_cmp_eq_u64_e32 vcc, s[8:9], v[6:7]
	v_cndmask_b32_e64 v3, 0, 1, vcc
	v_sub_co_u32_e32 v3, vcc, v6, v3
	v_subbrev_co_u32_e32 v6, vcc, 0, v7, vcc
	v_mul_lo_u32 v8, v6, s20
	v_mul_lo_u32 v9, v3, s21
	v_mad_u64_u32 v[6:7], s[2:3], v3, s20, 0
	v_add3_u32 v7, v7, v9, v8
	v_lshlrev_b64 v[6:7], 3, v[6:7]
	v_mov_b32_e32 v3, s19
	v_add_co_u32_e32 v6, vcc, s18, v6
	v_addc_co_u32_e32 v7, vcc, v3, v7, vcc
	s_waitcnt vmcnt(0)
	global_atomic_add_x2 v[6:7], v[4:5], off
.LBB5_3:                                ;   in Loop: Header=BB5_4 Depth=1
	s_or_b64 exec, exec, s[28:29]
	v_mov_b32_e32 v3, s42
	v_add_co_u32_e32 v0, vcc, s41, v0
	v_addc_co_u32_e32 v1, vcc, v1, v3, vcc
	v_cmp_le_i64_e32 vcc, s[14:15], v[0:1]
	s_or_b64 s[26:27], vcc, s[26:27]
	s_andn2_b64 exec, exec, s[26:27]
	s_cbranch_execz .LBB5_16
.LBB5_4:                                ; =>This Loop Header: Depth=1
                                        ;     Child Loop BB5_5 Depth 2
	s_and_b64 vcc, exec, s[0:1]
	v_pk_mov_b32 v[4:5], 0, 0
	s_mov_b64 s[28:29], s[4:5]
	s_mov_b32 s44, s43
	v_pk_mov_b32 v[6:7], v[0:1], v[0:1] op_sel:[0,1]
	v_pk_mov_b32 v[8:9], v[0:1], v[0:1] op_sel:[0,1]
	s_cbranch_vccnz .LBB5_11
.LBB5_5:                                ;   Parent Loop BB5_4 Depth=1
                                        ; =>  This Inner Loop Header: Depth=2
	s_load_dwordx2 s[30:31], s[28:29], 0x0
                                        ; implicit-def: $vgpr8_vgpr9
	s_waitcnt lgkmcnt(0)
	v_or_b32_e32 v3, s31, v7
	v_cmp_ne_u64_e32 vcc, 0, v[2:3]
	s_and_saveexec_b64 s[2:3], vcc
	s_xor_b64 s[34:35], exec, s[2:3]
	s_cbranch_execz .LBB5_7
; %bb.6:                                ;   in Loop: Header=BB5_5 Depth=2
	s_ashr_i32 s36, s31, 31
	s_add_u32 s2, s30, s36
	s_mov_b32 s37, s36
	s_addc_u32 s3, s31, s36
	s_xor_b64 s[38:39], s[2:3], s[36:37]
	v_cvt_f32_u32_e32 v3, s38
	v_cvt_f32_u32_e32 v8, s39
	s_sub_u32 s2, 0, s38
	s_subb_u32 s3, 0, s39
	v_mac_f32_e32 v3, 0x4f800000, v8
	v_rcp_f32_e32 v3, v3
	v_mul_f32_e32 v3, 0x5f7ffffc, v3
	v_mul_f32_e32 v8, 0x2f800000, v3
	v_trunc_f32_e32 v8, v8
	v_mac_f32_e32 v3, 0xcf800000, v8
	v_cvt_u32_f32_e32 v8, v8
	v_cvt_u32_f32_e32 v3, v3
	v_mul_lo_u32 v9, s2, v8
	v_mul_hi_u32 v11, s2, v3
	v_mul_lo_u32 v10, s3, v3
	v_add_u32_e32 v9, v11, v9
	v_mul_lo_u32 v12, s2, v3
	v_add_u32_e32 v9, v9, v10
	v_mul_lo_u32 v11, v3, v9
	v_mul_hi_u32 v13, v3, v12
	v_mul_hi_u32 v10, v3, v9
	v_add_co_u32_e32 v11, vcc, v13, v11
	v_addc_co_u32_e32 v10, vcc, 0, v10, vcc
	v_mul_hi_u32 v14, v8, v12
	v_mul_lo_u32 v12, v8, v12
	v_add_co_u32_e32 v11, vcc, v11, v12
	v_mul_hi_u32 v13, v8, v9
	v_addc_co_u32_e32 v10, vcc, v10, v14, vcc
	v_addc_co_u32_e32 v11, vcc, 0, v13, vcc
	v_mul_lo_u32 v9, v8, v9
	v_add_co_u32_e32 v9, vcc, v10, v9
	v_addc_co_u32_e32 v10, vcc, 0, v11, vcc
	v_add_co_u32_e32 v3, vcc, v3, v9
	v_addc_co_u32_e32 v8, vcc, v8, v10, vcc
	v_mul_lo_u32 v9, s2, v8
	v_mul_hi_u32 v10, s2, v3
	v_add_u32_e32 v9, v10, v9
	v_mul_lo_u32 v10, s3, v3
	v_add_u32_e32 v9, v9, v10
	v_mul_lo_u32 v11, s2, v3
	v_mul_hi_u32 v12, v8, v11
	v_mul_lo_u32 v13, v8, v11
	v_mul_lo_u32 v15, v3, v9
	v_mul_hi_u32 v11, v3, v11
	v_mul_hi_u32 v14, v3, v9
	v_add_co_u32_e32 v11, vcc, v11, v15
	v_addc_co_u32_e32 v14, vcc, 0, v14, vcc
	v_add_co_u32_e32 v11, vcc, v11, v13
	v_mul_hi_u32 v10, v8, v9
	v_addc_co_u32_e32 v11, vcc, v14, v12, vcc
	v_addc_co_u32_e32 v10, vcc, 0, v10, vcc
	v_mul_lo_u32 v9, v8, v9
	v_add_co_u32_e32 v9, vcc, v11, v9
	v_addc_co_u32_e32 v10, vcc, 0, v10, vcc
	v_add_co_u32_e32 v3, vcc, v3, v9
	v_addc_co_u32_e32 v10, vcc, v8, v10, vcc
	v_ashrrev_i32_e32 v12, 31, v7
	v_add_co_u32_e32 v8, vcc, v6, v12
	v_addc_co_u32_e32 v9, vcc, v7, v12, vcc
	v_xor_b32_e32 v14, v8, v12
	v_xor_b32_e32 v13, v9, v12
	v_mad_u64_u32 v[8:9], s[2:3], v14, v10, 0
	v_mul_hi_u32 v11, v14, v3
	v_add_co_u32_e32 v15, vcc, v11, v8
	v_addc_co_u32_e32 v16, vcc, 0, v9, vcc
	v_mad_u64_u32 v[8:9], s[2:3], v13, v10, 0
	v_mad_u64_u32 v[10:11], s[2:3], v13, v3, 0
	v_add_co_u32_e32 v3, vcc, v15, v10
	v_addc_co_u32_e32 v3, vcc, v16, v11, vcc
	v_addc_co_u32_e32 v9, vcc, 0, v9, vcc
	v_add_co_u32_e32 v3, vcc, v3, v8
	v_addc_co_u32_e32 v10, vcc, 0, v9, vcc
	v_mul_lo_u32 v11, s39, v3
	v_mul_lo_u32 v15, s38, v10
	v_mad_u64_u32 v[8:9], s[2:3], s38, v3, 0
	v_add3_u32 v9, v9, v15, v11
	v_sub_u32_e32 v11, v13, v9
	v_mov_b32_e32 v15, s39
	v_sub_co_u32_e32 v8, vcc, v14, v8
	v_subb_co_u32_e64 v11, s[2:3], v11, v15, vcc
	v_subrev_co_u32_e64 v14, s[2:3], s38, v8
	v_subbrev_co_u32_e64 v11, s[2:3], 0, v11, s[2:3]
	v_cmp_le_u32_e64 s[2:3], s39, v11
	v_cndmask_b32_e64 v15, 0, -1, s[2:3]
	v_cmp_le_u32_e64 s[2:3], s38, v14
	v_cndmask_b32_e64 v14, 0, -1, s[2:3]
	v_cmp_eq_u32_e64 s[2:3], s39, v11
	v_cndmask_b32_e64 v11, v15, v14, s[2:3]
	v_add_co_u32_e64 v14, s[2:3], 2, v3
	v_subb_co_u32_e32 v9, vcc, v13, v9, vcc
	v_addc_co_u32_e64 v15, s[2:3], 0, v10, s[2:3]
	v_cmp_le_u32_e32 vcc, s39, v9
	v_add_co_u32_e64 v16, s[2:3], 1, v3
	v_cndmask_b32_e64 v13, 0, -1, vcc
	v_cmp_le_u32_e32 vcc, s38, v8
	v_addc_co_u32_e64 v17, s[2:3], 0, v10, s[2:3]
	v_cndmask_b32_e64 v8, 0, -1, vcc
	v_cmp_eq_u32_e32 vcc, s39, v9
	v_cmp_ne_u32_e64 s[2:3], 0, v11
	v_cndmask_b32_e32 v8, v13, v8, vcc
	v_cmp_ne_u32_e32 vcc, 0, v8
	v_cndmask_b32_e64 v9, v16, v14, s[2:3]
	v_cndmask_b32_e64 v11, v17, v15, s[2:3]
	v_cndmask_b32_e32 v3, v3, v9, vcc
	v_xor_b32_e32 v9, s36, v12
	v_cndmask_b32_e32 v8, v10, v11, vcc
	v_xor_b32_e32 v3, v3, v9
	v_xor_b32_e32 v10, v8, v9
	v_sub_co_u32_e32 v8, vcc, v3, v9
	v_subb_co_u32_e32 v9, vcc, v10, v9, vcc
.LBB5_7:                                ;   in Loop: Header=BB5_5 Depth=2
	s_andn2_saveexec_b64 s[2:3], s[34:35]
	s_cbranch_execz .LBB5_9
; %bb.8:                                ;   in Loop: Header=BB5_5 Depth=2
	v_cvt_f32_u32_e32 v3, s30
	s_sub_i32 s34, 0, s30
	v_rcp_iflag_f32_e32 v3, v3
	v_mul_f32_e32 v3, 0x4f7ffffe, v3
	v_cvt_u32_f32_e32 v3, v3
	v_mul_lo_u32 v8, s34, v3
	v_mul_hi_u32 v8, v3, v8
	v_add_u32_e32 v3, v3, v8
	v_mul_hi_u32 v3, v6, v3
	v_mul_lo_u32 v8, v3, s30
	v_sub_u32_e32 v8, v6, v8
	v_add_u32_e32 v9, 1, v3
	v_subrev_u32_e32 v10, s30, v8
	v_cmp_le_u32_e32 vcc, s30, v8
	v_cndmask_b32_e32 v8, v8, v10, vcc
	v_cndmask_b32_e32 v3, v3, v9, vcc
	v_add_u32_e32 v9, 1, v3
	v_cmp_le_u32_e32 vcc, s30, v8
	v_cndmask_b32_e32 v8, v3, v9, vcc
	v_mov_b32_e32 v9, v2
.LBB5_9:                                ;   in Loop: Header=BB5_5 Depth=2
	s_or_b64 exec, exec, s[2:3]
	v_mad_u64_u32 v[10:11], s[2:3], v8, s30, 0
	s_load_dwordx2 s[2:3], s[28:29], 0xc8
	v_mul_lo_u32 v3, v9, s30
	v_mul_lo_u32 v12, v8, s31
	v_add3_u32 v3, v11, v12, v3
	v_sub_co_u32_e32 v6, vcc, v6, v10
	s_add_i32 s44, s44, -1
	v_subb_co_u32_e32 v3, vcc, v7, v3, vcc
	s_add_u32 s28, s28, -8
	s_waitcnt lgkmcnt(0)
	v_mul_lo_u32 v3, s2, v3
	v_mul_lo_u32 v7, s3, v6
	v_mad_u64_u32 v[4:5], s[2:3], s2, v6, v[4:5]
	s_addc_u32 s29, s29, -1
	s_cmp_gt_u32 s44, 2
	v_add3_u32 v5, v7, v5, v3
	s_cbranch_scc0 .LBB5_11
; %bb.10:                               ;   in Loop: Header=BB5_5 Depth=2
	v_pk_mov_b32 v[6:7], v[8:9], v[8:9] op_sel:[0,1]
	s_branch .LBB5_5
.LBB5_11:                               ;   in Loop: Header=BB5_4 Depth=1
	s_waitcnt lgkmcnt(0)
	v_pk_mov_b32 v[6:7], s[24:25], s[24:25] op_sel:[0,1]
	v_mad_u64_u32 v[6:7], s[2:3], s22, v8, v[6:7]
	v_mul_lo_u32 v3, s22, v9
	v_mul_lo_u32 v8, s23, v8
	v_add3_u32 v3, v8, v7, v3
	v_add_co_u32_e32 v4, vcc, v6, v4
	v_addc_co_u32_e32 v5, vcc, v3, v5, vcc
	global_load_ubyte v3, v[4:5], off
	v_mov_b32_e32 v5, s42
	s_waitcnt vmcnt(0)
	v_and_b32_e32 v4, 0xffff, v3
	v_cmp_le_i64_e32 vcc, s[10:11], v[4:5]
	v_cmp_ge_i64_e64 s[2:3], s[12:13], v[4:5]
	s_and_b64 s[2:3], vcc, s[2:3]
	s_and_saveexec_b64 s[28:29], s[2:3]
	s_cbranch_execz .LBB5_3
; %bb.12:                               ;   in Loop: Header=BB5_4 Depth=1
	v_mov_b32_e32 v3, s11
	v_subrev_co_u32_e32 v4, vcc, s10, v4
	v_subb_co_u32_e32 v3, vcc, 0, v3, vcc
	v_mul_lo_u32 v3, v3, s8
	v_mul_lo_u32 v6, v4, s9
	v_mad_u64_u32 v[4:5], s[2:3], v4, s8, 0
	v_add3_u32 v5, v5, v6, v3
	v_or_b32_e32 v3, s40, v5
	v_cmp_ne_u64_e32 vcc, 0, v[2:3]
                                        ; implicit-def: $vgpr6_vgpr7
	s_and_saveexec_b64 s[2:3], vcc
	s_xor_b64 s[30:31], exec, s[2:3]
	s_cbranch_execz .LBB5_14
; %bb.13:                               ;   in Loop: Header=BB5_4 Depth=1
	s_ashr_i32 s34, s40, 31
	s_add_u32 s2, s33, s34
	s_mov_b32 s35, s34
	s_addc_u32 s3, s40, s34
	s_xor_b64 s[36:37], s[2:3], s[34:35]
	v_cvt_f32_u32_e32 v3, s36
	v_cvt_f32_u32_e32 v6, s37
	s_sub_u32 s2, 0, s36
	s_subb_u32 s3, 0, s37
	v_mac_f32_e32 v3, 0x4f800000, v6
	v_rcp_f32_e32 v3, v3
	v_mul_f32_e32 v3, 0x5f7ffffc, v3
	v_mul_f32_e32 v6, 0x2f800000, v3
	v_trunc_f32_e32 v6, v6
	v_mac_f32_e32 v3, 0xcf800000, v6
	v_cvt_u32_f32_e32 v6, v6
	v_cvt_u32_f32_e32 v3, v3
	v_mul_lo_u32 v7, s2, v6
	v_mul_hi_u32 v9, s2, v3
	v_mul_lo_u32 v8, s3, v3
	v_add_u32_e32 v7, v9, v7
	v_mul_lo_u32 v10, s2, v3
	v_add_u32_e32 v7, v7, v8
	v_mul_lo_u32 v9, v3, v7
	v_mul_hi_u32 v11, v3, v10
	v_mul_hi_u32 v8, v3, v7
	v_add_co_u32_e32 v9, vcc, v11, v9
	v_addc_co_u32_e32 v8, vcc, 0, v8, vcc
	v_mul_hi_u32 v12, v6, v10
	v_mul_lo_u32 v10, v6, v10
	v_add_co_u32_e32 v9, vcc, v9, v10
	v_mul_hi_u32 v11, v6, v7
	v_addc_co_u32_e32 v8, vcc, v8, v12, vcc
	v_addc_co_u32_e32 v9, vcc, 0, v11, vcc
	v_mul_lo_u32 v7, v6, v7
	v_add_co_u32_e32 v7, vcc, v8, v7
	v_addc_co_u32_e32 v8, vcc, 0, v9, vcc
	v_add_co_u32_e32 v3, vcc, v3, v7
	v_addc_co_u32_e32 v6, vcc, v6, v8, vcc
	v_mul_lo_u32 v7, s2, v6
	v_mul_hi_u32 v8, s2, v3
	v_add_u32_e32 v7, v8, v7
	v_mul_lo_u32 v8, s3, v3
	v_add_u32_e32 v7, v7, v8
	v_mul_lo_u32 v9, s2, v3
	v_mul_hi_u32 v10, v6, v9
	v_mul_lo_u32 v11, v6, v9
	v_mul_lo_u32 v13, v3, v7
	v_mul_hi_u32 v9, v3, v9
	v_mul_hi_u32 v12, v3, v7
	v_add_co_u32_e32 v9, vcc, v9, v13
	v_addc_co_u32_e32 v12, vcc, 0, v12, vcc
	v_add_co_u32_e32 v9, vcc, v9, v11
	v_mul_hi_u32 v8, v6, v7
	v_addc_co_u32_e32 v9, vcc, v12, v10, vcc
	v_addc_co_u32_e32 v8, vcc, 0, v8, vcc
	v_mul_lo_u32 v7, v6, v7
	v_add_co_u32_e32 v7, vcc, v9, v7
	v_addc_co_u32_e32 v8, vcc, 0, v8, vcc
	v_add_co_u32_e32 v3, vcc, v3, v7
	v_addc_co_u32_e32 v6, vcc, v6, v8, vcc
	v_ashrrev_i32_e32 v8, 31, v5
	v_add_co_u32_e32 v4, vcc, v4, v8
	v_addc_co_u32_e32 v5, vcc, v5, v8, vcc
	v_xor_b32_e32 v10, v4, v8
	v_xor_b32_e32 v9, v5, v8
	v_mad_u64_u32 v[4:5], s[2:3], v10, v6, 0
	v_mul_hi_u32 v7, v10, v3
	v_add_co_u32_e32 v11, vcc, v7, v4
	v_addc_co_u32_e32 v12, vcc, 0, v5, vcc
	v_mad_u64_u32 v[4:5], s[2:3], v9, v6, 0
	v_mad_u64_u32 v[6:7], s[2:3], v9, v3, 0
	v_add_co_u32_e32 v3, vcc, v11, v6
	v_addc_co_u32_e32 v3, vcc, v12, v7, vcc
	v_addc_co_u32_e32 v5, vcc, 0, v5, vcc
	v_add_co_u32_e32 v3, vcc, v3, v4
	v_addc_co_u32_e32 v4, vcc, 0, v5, vcc
	v_mul_lo_u32 v6, s37, v3
	v_mul_lo_u32 v7, s36, v4
	v_mad_u64_u32 v[4:5], s[2:3], s36, v3, 0
	v_add3_u32 v5, v5, v7, v6
	v_sub_u32_e32 v6, v9, v5
	v_mov_b32_e32 v7, s37
	v_sub_co_u32_e32 v4, vcc, v10, v4
	v_subb_co_u32_e64 v6, s[2:3], v6, v7, vcc
	v_subrev_co_u32_e64 v7, s[2:3], s36, v4
	v_subbrev_co_u32_e64 v6, s[2:3], 0, v6, s[2:3]
	v_cmp_le_u32_e64 s[2:3], s37, v6
	v_subb_co_u32_e32 v5, vcc, v9, v5, vcc
	v_cndmask_b32_e64 v10, 0, -1, s[2:3]
	v_cmp_le_u32_e64 s[2:3], s36, v7
	v_cmp_le_u32_e32 vcc, s37, v5
	v_cndmask_b32_e64 v7, 0, -1, s[2:3]
	v_cmp_eq_u32_e64 s[2:3], s37, v6
	v_cndmask_b32_e64 v9, 0, -1, vcc
	v_cmp_le_u32_e32 vcc, s36, v4
	v_cndmask_b32_e64 v6, v10, v7, s[2:3]
	v_cndmask_b32_e64 v4, 0, -1, vcc
	v_cmp_eq_u32_e32 vcc, s37, v5
	v_add_co_u32_e64 v7, s[2:3], 2, v3
	v_add_co_u32_e64 v10, s[2:3], 1, v3
	v_cndmask_b32_e32 v4, v9, v4, vcc
	v_cmp_ne_u32_e32 vcc, 0, v6
	v_cndmask_b32_e32 v5, v10, v7, vcc
	v_cmp_ne_u32_e32 vcc, 0, v4
	v_cndmask_b32_e32 v3, v3, v5, vcc
	v_xor_b32_e32 v4, s34, v8
	v_xor_b32_e32 v3, v3, v4
	v_sub_co_u32_e32 v6, vcc, v3, v4
                                        ; implicit-def: $vgpr4_vgpr5
.LBB5_14:                               ;   in Loop: Header=BB5_4 Depth=1
	s_andn2_saveexec_b64 s[2:3], s[30:31]
	s_cbranch_execz .LBB5_2
; %bb.15:                               ;   in Loop: Header=BB5_4 Depth=1
	v_cvt_f32_u32_e32 v3, s33
	s_sub_i32 s30, 0, s33
	v_rcp_iflag_f32_e32 v3, v3
	v_mul_f32_e32 v3, 0x4f7ffffe, v3
	v_cvt_u32_f32_e32 v3, v3
	v_mul_lo_u32 v5, s30, v3
	v_mul_hi_u32 v5, v3, v5
	v_add_u32_e32 v3, v3, v5
	v_mul_hi_u32 v3, v4, v3
	v_mul_lo_u32 v5, v3, s33
	v_sub_u32_e32 v4, v4, v5
	v_add_u32_e32 v6, 1, v3
	v_subrev_u32_e32 v5, s33, v4
	v_cmp_le_u32_e32 vcc, s33, v4
	v_cndmask_b32_e32 v4, v4, v5, vcc
	v_cndmask_b32_e32 v3, v3, v6, vcc
	v_add_u32_e32 v5, 1, v3
	v_cmp_le_u32_e32 vcc, s33, v4
	v_cndmask_b32_e32 v6, v3, v5, vcc
	s_branch .LBB5_2
.LBB5_16:
	s_endpgm
	.section	.rodata,"a",@progbits
	.p2align	6, 0x0
	.amdhsa_kernel _ZN2at4cuda17kernelHistogram1DIlhlLi1ELi2ELin1ELNS0_23CUDAHistogramMemoryTypeE1EZNS0_21CUDA_tensor_histogramIlhLb0EEEbNS_6TensorES4_S4_lNS_14AccumulateTypeIT0_Lb1EE4typeES8_NS0_13TensorArgTypeES9_S9_EUllE_EEvNS0_6detail10TensorInfoIT_T1_EESF_NSC_IKS6_SE_EElS8_S8_SE_T6_
		.amdhsa_group_segment_fixed_size 0
		.amdhsa_private_segment_fixed_size 0
		.amdhsa_kernarg_size 1952
		.amdhsa_user_sgpr_count 6
		.amdhsa_user_sgpr_private_segment_buffer 1
		.amdhsa_user_sgpr_dispatch_ptr 0
		.amdhsa_user_sgpr_queue_ptr 0
		.amdhsa_user_sgpr_kernarg_segment_ptr 1
		.amdhsa_user_sgpr_dispatch_id 0
		.amdhsa_user_sgpr_flat_scratch_init 0
		.amdhsa_user_sgpr_kernarg_preload_length 0
		.amdhsa_user_sgpr_kernarg_preload_offset 0
		.amdhsa_user_sgpr_private_segment_size 0
		.amdhsa_uses_dynamic_stack 0
		.amdhsa_system_sgpr_private_segment_wavefront_offset 0
		.amdhsa_system_sgpr_workgroup_id_x 1
		.amdhsa_system_sgpr_workgroup_id_y 0
		.amdhsa_system_sgpr_workgroup_id_z 0
		.amdhsa_system_sgpr_workgroup_info 0
		.amdhsa_system_vgpr_workitem_id 0
		.amdhsa_next_free_vgpr 18
		.amdhsa_next_free_sgpr 45
		.amdhsa_accum_offset 20
		.amdhsa_reserve_vcc 1
		.amdhsa_reserve_flat_scratch 0
		.amdhsa_float_round_mode_32 0
		.amdhsa_float_round_mode_16_64 0
		.amdhsa_float_denorm_mode_32 3
		.amdhsa_float_denorm_mode_16_64 3
		.amdhsa_dx10_clamp 1
		.amdhsa_ieee_mode 1
		.amdhsa_fp16_overflow 0
		.amdhsa_tg_split 0
		.amdhsa_exception_fp_ieee_invalid_op 0
		.amdhsa_exception_fp_denorm_src 0
		.amdhsa_exception_fp_ieee_div_zero 0
		.amdhsa_exception_fp_ieee_overflow 0
		.amdhsa_exception_fp_ieee_underflow 0
		.amdhsa_exception_fp_ieee_inexact 0
		.amdhsa_exception_int_div_zero 0
	.end_amdhsa_kernel
	.section	.text._ZN2at4cuda17kernelHistogram1DIlhlLi1ELi2ELin1ELNS0_23CUDAHistogramMemoryTypeE1EZNS0_21CUDA_tensor_histogramIlhLb0EEEbNS_6TensorES4_S4_lNS_14AccumulateTypeIT0_Lb1EE4typeES8_NS0_13TensorArgTypeES9_S9_EUllE_EEvNS0_6detail10TensorInfoIT_T1_EESF_NSC_IKS6_SE_EElS8_S8_SE_T6_,"axG",@progbits,_ZN2at4cuda17kernelHistogram1DIlhlLi1ELi2ELin1ELNS0_23CUDAHistogramMemoryTypeE1EZNS0_21CUDA_tensor_histogramIlhLb0EEEbNS_6TensorES4_S4_lNS_14AccumulateTypeIT0_Lb1EE4typeES8_NS0_13TensorArgTypeES9_S9_EUllE_EEvNS0_6detail10TensorInfoIT_T1_EESF_NSC_IKS6_SE_EElS8_S8_SE_T6_,comdat
.Lfunc_end5:
	.size	_ZN2at4cuda17kernelHistogram1DIlhlLi1ELi2ELin1ELNS0_23CUDAHistogramMemoryTypeE1EZNS0_21CUDA_tensor_histogramIlhLb0EEEbNS_6TensorES4_S4_lNS_14AccumulateTypeIT0_Lb1EE4typeES8_NS0_13TensorArgTypeES9_S9_EUllE_EEvNS0_6detail10TensorInfoIT_T1_EESF_NSC_IKS6_SE_EElS8_S8_SE_T6_, .Lfunc_end5-_ZN2at4cuda17kernelHistogram1DIlhlLi1ELi2ELin1ELNS0_23CUDAHistogramMemoryTypeE1EZNS0_21CUDA_tensor_histogramIlhLb0EEEbNS_6TensorES4_S4_lNS_14AccumulateTypeIT0_Lb1EE4typeES8_NS0_13TensorArgTypeES9_S9_EUllE_EEvNS0_6detail10TensorInfoIT_T1_EESF_NSC_IKS6_SE_EElS8_S8_SE_T6_
                                        ; -- End function
	.section	.AMDGPU.csdata,"",@progbits
; Kernel info:
; codeLenInByte = 2280
; NumSgprs: 49
; NumVgprs: 18
; NumAgprs: 0
; TotalNumVgprs: 18
; ScratchSize: 0
; MemoryBound: 0
; FloatMode: 240
; IeeeMode: 1
; LDSByteSize: 0 bytes/workgroup (compile time only)
; SGPRBlocks: 6
; VGPRBlocks: 2
; NumSGPRsForWavesPerEU: 49
; NumVGPRsForWavesPerEU: 18
; AccumOffset: 20
; Occupancy: 8
; WaveLimiterHint : 1
; COMPUTE_PGM_RSRC2:SCRATCH_EN: 0
; COMPUTE_PGM_RSRC2:USER_SGPR: 6
; COMPUTE_PGM_RSRC2:TRAP_HANDLER: 0
; COMPUTE_PGM_RSRC2:TGID_X_EN: 1
; COMPUTE_PGM_RSRC2:TGID_Y_EN: 0
; COMPUTE_PGM_RSRC2:TGID_Z_EN: 0
; COMPUTE_PGM_RSRC2:TIDIG_COMP_CNT: 0
; COMPUTE_PGM_RSRC3_GFX90A:ACCUM_OFFSET: 4
; COMPUTE_PGM_RSRC3_GFX90A:TG_SPLIT: 0
	.section	.text._ZN2at4cuda17kernelHistogram1DIlhlLi1ELi2ELin1ELNS0_23CUDAHistogramMemoryTypeE0EZNS0_21CUDA_tensor_histogramIlhLb0EEEbNS_6TensorES4_S4_lNS_14AccumulateTypeIT0_Lb1EE4typeES8_NS0_13TensorArgTypeES9_S9_EUllE0_EEvNS0_6detail10TensorInfoIT_T1_EESF_NSC_IKS6_SE_EElS8_S8_SE_T6_,"axG",@progbits,_ZN2at4cuda17kernelHistogram1DIlhlLi1ELi2ELin1ELNS0_23CUDAHistogramMemoryTypeE0EZNS0_21CUDA_tensor_histogramIlhLb0EEEbNS_6TensorES4_S4_lNS_14AccumulateTypeIT0_Lb1EE4typeES8_NS0_13TensorArgTypeES9_S9_EUllE0_EEvNS0_6detail10TensorInfoIT_T1_EESF_NSC_IKS6_SE_EElS8_S8_SE_T6_,comdat
	.protected	_ZN2at4cuda17kernelHistogram1DIlhlLi1ELi2ELin1ELNS0_23CUDAHistogramMemoryTypeE0EZNS0_21CUDA_tensor_histogramIlhLb0EEEbNS_6TensorES4_S4_lNS_14AccumulateTypeIT0_Lb1EE4typeES8_NS0_13TensorArgTypeES9_S9_EUllE0_EEvNS0_6detail10TensorInfoIT_T1_EESF_NSC_IKS6_SE_EElS8_S8_SE_T6_ ; -- Begin function _ZN2at4cuda17kernelHistogram1DIlhlLi1ELi2ELin1ELNS0_23CUDAHistogramMemoryTypeE0EZNS0_21CUDA_tensor_histogramIlhLb0EEEbNS_6TensorES4_S4_lNS_14AccumulateTypeIT0_Lb1EE4typeES8_NS0_13TensorArgTypeES9_S9_EUllE0_EEvNS0_6detail10TensorInfoIT_T1_EESF_NSC_IKS6_SE_EElS8_S8_SE_T6_
	.globl	_ZN2at4cuda17kernelHistogram1DIlhlLi1ELi2ELin1ELNS0_23CUDAHistogramMemoryTypeE0EZNS0_21CUDA_tensor_histogramIlhLb0EEEbNS_6TensorES4_S4_lNS_14AccumulateTypeIT0_Lb1EE4typeES8_NS0_13TensorArgTypeES9_S9_EUllE0_EEvNS0_6detail10TensorInfoIT_T1_EESF_NSC_IKS6_SE_EElS8_S8_SE_T6_
	.p2align	8
	.type	_ZN2at4cuda17kernelHistogram1DIlhlLi1ELi2ELin1ELNS0_23CUDAHistogramMemoryTypeE0EZNS0_21CUDA_tensor_histogramIlhLb0EEEbNS_6TensorES4_S4_lNS_14AccumulateTypeIT0_Lb1EE4typeES8_NS0_13TensorArgTypeES9_S9_EUllE0_EEvNS0_6detail10TensorInfoIT_T1_EESF_NSC_IKS6_SE_EElS8_S8_SE_T6_,@function
_ZN2at4cuda17kernelHistogram1DIlhlLi1ELi2ELin1ELNS0_23CUDAHistogramMemoryTypeE0EZNS0_21CUDA_tensor_histogramIlhLb0EEEbNS_6TensorES4_S4_lNS_14AccumulateTypeIT0_Lb1EE4typeES8_NS0_13TensorArgTypeES9_S9_EUllE0_EEvNS0_6detail10TensorInfoIT_T1_EESF_NSC_IKS6_SE_EElS8_S8_SE_T6_: ; @_ZN2at4cuda17kernelHistogram1DIlhlLi1ELi2ELin1ELNS0_23CUDAHistogramMemoryTypeE0EZNS0_21CUDA_tensor_histogramIlhLb0EEEbNS_6TensorES4_S4_lNS_14AccumulateTypeIT0_Lb1EE4typeES8_NS0_13TensorArgTypeES9_S9_EUllE0_EEvNS0_6detail10TensorInfoIT_T1_EESF_NSC_IKS6_SE_EElS8_S8_SE_T6_
; %bb.0:
	s_load_dwordx4 s[16:19], s[4:5], 0x0
	v_mov_b32_e32 v1, 0
	s_add_u32 s2, s4, 0x508
	s_addc_u32 s3, s5, 0
                                        ; implicit-def: $sgpr7
                                        ; implicit-def: $sgpr10
	s_waitcnt lgkmcnt(0)
	v_cmp_gt_i64_e64 s[0:1], s[18:19], v[0:1]
	v_cmp_le_i64_e32 vcc, s[18:19], v[0:1]
	s_and_saveexec_b64 s[8:9], vcc
	s_xor_b64 s[8:9], exec, s[8:9]
	s_cbranch_execz .LBB6_2
; %bb.1:
	s_load_dword s7, s[2:3], 0xc
	s_waitcnt lgkmcnt(0)
	s_and_b32 s10, s7, 0xffff
.LBB6_2:
	s_or_saveexec_b64 s[8:9], s[8:9]
	s_load_dwordx2 s[20:21], s[4:5], 0xd0
	v_mov_b32_e32 v7, s7
	v_mov_b32_e32 v15, s10
	v_lshl_add_u32 v14, v0, 3, 0
	s_xor_b64 exec, exec, s[8:9]
	s_cbranch_execz .LBB6_6
; %bb.3:
	s_load_dword s7, s[2:3], 0xc
	s_mov_b32 s14, 0
	v_mov_b32_e32 v2, 0
	v_lshl_add_u32 v6, v0, 3, 0
	s_mov_b64 s[10:11], 0
	s_waitcnt lgkmcnt(0)
	s_and_b32 s12, s7, 0xffff
	s_lshl_b32 s13, s12, 3
	v_mov_b32_e32 v3, v2
	v_mov_b32_e32 v7, s14
	v_pk_mov_b32 v[4:5], v[0:1], v[0:1] op_sel:[0,1]
.LBB6_4:                                ; =>This Inner Loop Header: Depth=1
	v_add_co_u32_e32 v4, vcc, s12, v4
	v_addc_co_u32_e32 v5, vcc, v5, v7, vcc
	v_cmp_le_i64_e32 vcc, s[18:19], v[4:5]
	ds_write_b64 v6, v[2:3]
	s_or_b64 s[10:11], vcc, s[10:11]
	v_add_u32_e32 v6, s13, v6
	s_andn2_b64 exec, exec, s[10:11]
	s_cbranch_execnz .LBB6_4
; %bb.5:
	s_or_b64 exec, exec, s[10:11]
	v_mov_b32_e32 v7, s7
	v_mov_b32_e32 v15, s12
.LBB6_6:
	s_or_b64 exec, exec, s[8:9]
	s_load_dwordx8 s[8:15], s[4:5], 0x4e0
	v_mad_u64_u32 v[2:3], s[6:7], s6, v15, v[0:1]
	v_mov_b32_e32 v4, 0
	v_mov_b32_e32 v3, v4
	s_waitcnt lgkmcnt(0)
	v_cmp_gt_i64_e32 vcc, s[14:15], v[2:3]
	s_barrier
	s_and_saveexec_b64 s[6:7], vcc
	s_cbranch_execz .LBB6_22
; %bb.7:
	s_load_dword s26, s[4:5], 0x4d8
	s_load_dwordx2 s[22:23], s[4:5], 0x410
	s_load_dwordx2 s[24:25], s[4:5], 0x340
	s_load_dword s27, s[2:3], 0x0
	s_add_u32 s28, s4, 0x340
	s_addc_u32 s29, s5, 0
	s_waitcnt lgkmcnt(0)
	s_cmp_gt_i32 s26, 1
	s_cselect_b64 s[2:3], -1, 0
	s_sub_u32 s33, s12, s10
	s_subb_u32 s44, s13, s11
	v_mul_lo_u32 v6, s27, v15
	s_mov_b32 s27, 0
	s_add_i32 s45, s26, 1
	s_add_i32 s26, s26, -1
	s_lshl_b64 s[4:5], s[26:27], 3
	s_add_u32 s4, s4, s28
	s_addc_u32 s5, s5, s29
	s_add_u32 s28, s4, 8
	v_cndmask_b32_e64 v5, 0, 1, s[2:3]
	s_addc_u32 s29, s5, 0
	s_mov_b64 s[30:31], 0
	v_cmp_ne_u32_e64 s[2:3], 1, v5
	s_branch .LBB6_10
.LBB6_8:                                ;   in Loop: Header=BB6_10 Depth=1
	s_or_b64 exec, exec, s[4:5]
	v_ashrrev_i32_e32 v11, 31, v10
	v_cmp_eq_u64_e32 vcc, s[8:9], v[10:11]
	v_subbrev_co_u32_e32 v5, vcc, 0, v10, vcc
	v_mov_b32_e32 v8, 1
	v_lshl_add_u32 v5, v5, 3, 0
	v_mov_b32_e32 v9, 0
	ds_add_u64 v5, v[8:9]
.LBB6_9:                                ;   in Loop: Header=BB6_10 Depth=1
	s_or_b64 exec, exec, s[34:35]
	v_add_co_u32_e32 v2, vcc, v2, v6
	v_addc_co_u32_e32 v3, vcc, 0, v3, vcc
	v_cmp_le_i64_e32 vcc, s[14:15], v[2:3]
	s_or_b64 s[30:31], vcc, s[30:31]
	s_andn2_b64 exec, exec, s[30:31]
	s_cbranch_execz .LBB6_22
.LBB6_10:                               ; =>This Loop Header: Depth=1
                                        ;     Child Loop BB6_11 Depth 2
	s_and_b64 vcc, exec, s[2:3]
	v_pk_mov_b32 v[8:9], 0, 0
	s_mov_b64 s[34:35], s[28:29]
	s_mov_b32 s26, s45
	v_pk_mov_b32 v[10:11], v[2:3], v[2:3] op_sel:[0,1]
	v_pk_mov_b32 v[12:13], v[2:3], v[2:3] op_sel:[0,1]
	s_cbranch_vccnz .LBB6_17
.LBB6_11:                               ;   Parent Loop BB6_10 Depth=1
                                        ; =>  This Inner Loop Header: Depth=2
	s_load_dwordx2 s[36:37], s[34:35], 0x0
                                        ; implicit-def: $vgpr12_vgpr13
	s_waitcnt lgkmcnt(0)
	v_or_b32_e32 v5, s37, v11
	v_cmp_ne_u64_e32 vcc, 0, v[4:5]
	s_and_saveexec_b64 s[4:5], vcc
	s_xor_b64 s[38:39], exec, s[4:5]
	s_cbranch_execz .LBB6_13
; %bb.12:                               ;   in Loop: Header=BB6_11 Depth=2
	s_ashr_i32 s40, s37, 31
	s_add_u32 s4, s36, s40
	s_mov_b32 s41, s40
	s_addc_u32 s5, s37, s40
	s_xor_b64 s[42:43], s[4:5], s[40:41]
	v_cvt_f32_u32_e32 v5, s42
	v_cvt_f32_u32_e32 v12, s43
	s_sub_u32 s4, 0, s42
	s_subb_u32 s5, 0, s43
	v_mac_f32_e32 v5, 0x4f800000, v12
	v_rcp_f32_e32 v5, v5
	v_mul_f32_e32 v5, 0x5f7ffffc, v5
	v_mul_f32_e32 v12, 0x2f800000, v5
	v_trunc_f32_e32 v12, v12
	v_mac_f32_e32 v5, 0xcf800000, v12
	v_cvt_u32_f32_e32 v12, v12
	v_cvt_u32_f32_e32 v5, v5
	v_mul_lo_u32 v13, s4, v12
	v_mul_hi_u32 v17, s4, v5
	v_mul_lo_u32 v16, s5, v5
	v_add_u32_e32 v13, v17, v13
	v_mul_lo_u32 v18, s4, v5
	v_add_u32_e32 v13, v13, v16
	v_mul_lo_u32 v17, v5, v13
	v_mul_hi_u32 v19, v5, v18
	v_mul_hi_u32 v16, v5, v13
	v_add_co_u32_e32 v17, vcc, v19, v17
	v_addc_co_u32_e32 v16, vcc, 0, v16, vcc
	v_mul_hi_u32 v20, v12, v18
	v_mul_lo_u32 v18, v12, v18
	v_add_co_u32_e32 v17, vcc, v17, v18
	v_mul_hi_u32 v19, v12, v13
	v_addc_co_u32_e32 v16, vcc, v16, v20, vcc
	v_addc_co_u32_e32 v17, vcc, 0, v19, vcc
	v_mul_lo_u32 v13, v12, v13
	v_add_co_u32_e32 v13, vcc, v16, v13
	v_addc_co_u32_e32 v16, vcc, 0, v17, vcc
	v_add_co_u32_e32 v5, vcc, v5, v13
	v_addc_co_u32_e32 v12, vcc, v12, v16, vcc
	v_mul_lo_u32 v13, s4, v12
	v_mul_hi_u32 v16, s4, v5
	v_add_u32_e32 v13, v16, v13
	v_mul_lo_u32 v16, s5, v5
	v_add_u32_e32 v13, v13, v16
	v_mul_lo_u32 v17, s4, v5
	v_mul_hi_u32 v18, v12, v17
	v_mul_lo_u32 v19, v12, v17
	v_mul_lo_u32 v21, v5, v13
	v_mul_hi_u32 v17, v5, v17
	v_mul_hi_u32 v20, v5, v13
	v_add_co_u32_e32 v17, vcc, v17, v21
	v_addc_co_u32_e32 v20, vcc, 0, v20, vcc
	v_add_co_u32_e32 v17, vcc, v17, v19
	v_mul_hi_u32 v16, v12, v13
	v_addc_co_u32_e32 v17, vcc, v20, v18, vcc
	v_addc_co_u32_e32 v16, vcc, 0, v16, vcc
	v_mul_lo_u32 v13, v12, v13
	v_add_co_u32_e32 v13, vcc, v17, v13
	v_addc_co_u32_e32 v16, vcc, 0, v16, vcc
	v_add_co_u32_e32 v5, vcc, v5, v13
	v_addc_co_u32_e32 v16, vcc, v12, v16, vcc
	v_ashrrev_i32_e32 v18, 31, v11
	v_add_co_u32_e32 v12, vcc, v10, v18
	v_addc_co_u32_e32 v13, vcc, v11, v18, vcc
	v_xor_b32_e32 v20, v12, v18
	v_xor_b32_e32 v19, v13, v18
	v_mad_u64_u32 v[12:13], s[4:5], v20, v16, 0
	v_mul_hi_u32 v17, v20, v5
	v_add_co_u32_e32 v21, vcc, v17, v12
	v_addc_co_u32_e32 v22, vcc, 0, v13, vcc
	v_mad_u64_u32 v[12:13], s[4:5], v19, v16, 0
	v_mad_u64_u32 v[16:17], s[4:5], v19, v5, 0
	v_add_co_u32_e32 v5, vcc, v21, v16
	v_addc_co_u32_e32 v5, vcc, v22, v17, vcc
	v_addc_co_u32_e32 v13, vcc, 0, v13, vcc
	v_add_co_u32_e32 v5, vcc, v5, v12
	v_addc_co_u32_e32 v16, vcc, 0, v13, vcc
	v_mul_lo_u32 v17, s43, v5
	v_mul_lo_u32 v21, s42, v16
	v_mad_u64_u32 v[12:13], s[4:5], s42, v5, 0
	v_add3_u32 v13, v13, v21, v17
	v_sub_u32_e32 v17, v19, v13
	v_mov_b32_e32 v21, s43
	v_sub_co_u32_e32 v12, vcc, v20, v12
	v_subb_co_u32_e64 v17, s[4:5], v17, v21, vcc
	v_subrev_co_u32_e64 v20, s[4:5], s42, v12
	v_subbrev_co_u32_e64 v17, s[4:5], 0, v17, s[4:5]
	v_cmp_le_u32_e64 s[4:5], s43, v17
	v_cndmask_b32_e64 v21, 0, -1, s[4:5]
	v_cmp_le_u32_e64 s[4:5], s42, v20
	v_cndmask_b32_e64 v20, 0, -1, s[4:5]
	v_cmp_eq_u32_e64 s[4:5], s43, v17
	v_cndmask_b32_e64 v17, v21, v20, s[4:5]
	v_add_co_u32_e64 v20, s[4:5], 2, v5
	v_subb_co_u32_e32 v13, vcc, v19, v13, vcc
	v_addc_co_u32_e64 v21, s[4:5], 0, v16, s[4:5]
	v_cmp_le_u32_e32 vcc, s43, v13
	v_add_co_u32_e64 v22, s[4:5], 1, v5
	v_cndmask_b32_e64 v19, 0, -1, vcc
	v_cmp_le_u32_e32 vcc, s42, v12
	v_addc_co_u32_e64 v23, s[4:5], 0, v16, s[4:5]
	v_cndmask_b32_e64 v12, 0, -1, vcc
	v_cmp_eq_u32_e32 vcc, s43, v13
	v_cmp_ne_u32_e64 s[4:5], 0, v17
	v_cndmask_b32_e32 v12, v19, v12, vcc
	v_cmp_ne_u32_e32 vcc, 0, v12
	v_cndmask_b32_e64 v13, v22, v20, s[4:5]
	v_cndmask_b32_e64 v17, v23, v21, s[4:5]
	v_cndmask_b32_e32 v5, v5, v13, vcc
	v_xor_b32_e32 v13, s40, v18
	v_cndmask_b32_e32 v12, v16, v17, vcc
	v_xor_b32_e32 v5, v5, v13
	v_xor_b32_e32 v16, v12, v13
	v_sub_co_u32_e32 v12, vcc, v5, v13
	v_subb_co_u32_e32 v13, vcc, v16, v13, vcc
.LBB6_13:                               ;   in Loop: Header=BB6_11 Depth=2
	s_andn2_saveexec_b64 s[4:5], s[38:39]
	s_cbranch_execz .LBB6_15
; %bb.14:                               ;   in Loop: Header=BB6_11 Depth=2
	v_cvt_f32_u32_e32 v5, s36
	s_sub_i32 s38, 0, s36
	v_rcp_iflag_f32_e32 v5, v5
	v_mul_f32_e32 v5, 0x4f7ffffe, v5
	v_cvt_u32_f32_e32 v5, v5
	v_mul_lo_u32 v12, s38, v5
	v_mul_hi_u32 v12, v5, v12
	v_add_u32_e32 v5, v5, v12
	v_mul_hi_u32 v5, v10, v5
	v_mul_lo_u32 v12, v5, s36
	v_sub_u32_e32 v12, v10, v12
	v_add_u32_e32 v13, 1, v5
	v_subrev_u32_e32 v16, s36, v12
	v_cmp_le_u32_e32 vcc, s36, v12
	v_cndmask_b32_e32 v12, v12, v16, vcc
	v_cndmask_b32_e32 v5, v5, v13, vcc
	v_add_u32_e32 v13, 1, v5
	v_cmp_le_u32_e32 vcc, s36, v12
	v_cndmask_b32_e32 v12, v5, v13, vcc
	v_mov_b32_e32 v13, v4
.LBB6_15:                               ;   in Loop: Header=BB6_11 Depth=2
	s_or_b64 exec, exec, s[4:5]
	v_mad_u64_u32 v[16:17], s[4:5], v12, s36, 0
	s_load_dwordx2 s[4:5], s[34:35], 0xc8
	v_mul_lo_u32 v5, v13, s36
	v_mul_lo_u32 v18, v12, s37
	v_add3_u32 v5, v17, v18, v5
	v_sub_co_u32_e32 v10, vcc, v10, v16
	s_add_i32 s26, s26, -1
	v_subb_co_u32_e32 v5, vcc, v11, v5, vcc
	s_add_u32 s34, s34, -8
	s_waitcnt lgkmcnt(0)
	v_mul_lo_u32 v5, s4, v5
	v_mul_lo_u32 v11, s5, v10
	v_mad_u64_u32 v[8:9], s[4:5], s4, v10, v[8:9]
	s_addc_u32 s35, s35, -1
	s_cmp_gt_u32 s26, 2
	v_add3_u32 v9, v11, v9, v5
	s_cbranch_scc0 .LBB6_17
; %bb.16:                               ;   in Loop: Header=BB6_11 Depth=2
	v_pk_mov_b32 v[10:11], v[12:13], v[12:13] op_sel:[0,1]
	s_branch .LBB6_11
.LBB6_17:                               ;   in Loop: Header=BB6_10 Depth=1
	v_pk_mov_b32 v[10:11], s[24:25], s[24:25] op_sel:[0,1]
	v_mad_u64_u32 v[10:11], s[4:5], s22, v12, v[10:11]
	v_mul_lo_u32 v5, s22, v13
	v_mul_lo_u32 v12, s23, v12
	v_add3_u32 v5, v12, v11, v5
	v_add_co_u32_e32 v8, vcc, v10, v8
	v_addc_co_u32_e32 v9, vcc, v5, v9, vcc
	global_load_ubyte v5, v[8:9], off
	v_mov_b32_e32 v9, s27
	s_waitcnt vmcnt(0)
	v_and_b32_e32 v8, 0xffff, v5
	v_cmp_le_i64_e32 vcc, s[10:11], v[8:9]
	v_cmp_ge_i64_e64 s[4:5], s[12:13], v[8:9]
	s_and_b64 s[4:5], vcc, s[4:5]
	s_and_saveexec_b64 s[34:35], s[4:5]
	s_cbranch_execz .LBB6_9
; %bb.18:                               ;   in Loop: Header=BB6_10 Depth=1
	v_mov_b32_e32 v5, s11
	v_subrev_co_u32_e32 v8, vcc, s10, v8
	v_subb_co_u32_e32 v5, vcc, 0, v5, vcc
	v_mul_lo_u32 v5, v5, s8
	v_mul_lo_u32 v10, v8, s9
	v_mad_u64_u32 v[8:9], s[4:5], v8, s8, 0
	v_add3_u32 v9, v9, v10, v5
	v_or_b32_e32 v5, s44, v9
	v_cmp_ne_u64_e32 vcc, 0, v[4:5]
                                        ; implicit-def: $vgpr10_vgpr11
	s_and_saveexec_b64 s[4:5], vcc
	s_xor_b64 s[36:37], exec, s[4:5]
	s_cbranch_execz .LBB6_20
; %bb.19:                               ;   in Loop: Header=BB6_10 Depth=1
	s_ashr_i32 s38, s44, 31
	s_add_u32 s4, s33, s38
	s_mov_b32 s39, s38
	s_addc_u32 s5, s44, s38
	s_xor_b64 s[40:41], s[4:5], s[38:39]
	v_cvt_f32_u32_e32 v5, s40
	v_cvt_f32_u32_e32 v10, s41
	s_sub_u32 s4, 0, s40
	s_subb_u32 s5, 0, s41
	v_mac_f32_e32 v5, 0x4f800000, v10
	v_rcp_f32_e32 v5, v5
	v_mul_f32_e32 v5, 0x5f7ffffc, v5
	v_mul_f32_e32 v10, 0x2f800000, v5
	v_trunc_f32_e32 v10, v10
	v_mac_f32_e32 v5, 0xcf800000, v10
	v_cvt_u32_f32_e32 v10, v10
	v_cvt_u32_f32_e32 v5, v5
	v_mul_lo_u32 v11, s4, v10
	v_mul_hi_u32 v13, s4, v5
	v_mul_lo_u32 v12, s5, v5
	v_add_u32_e32 v11, v13, v11
	v_mul_lo_u32 v16, s4, v5
	v_add_u32_e32 v11, v11, v12
	v_mul_lo_u32 v13, v5, v11
	v_mul_hi_u32 v17, v5, v16
	v_mul_hi_u32 v12, v5, v11
	v_add_co_u32_e32 v13, vcc, v17, v13
	v_addc_co_u32_e32 v12, vcc, 0, v12, vcc
	v_mul_hi_u32 v18, v10, v16
	v_mul_lo_u32 v16, v10, v16
	v_add_co_u32_e32 v13, vcc, v13, v16
	v_mul_hi_u32 v17, v10, v11
	v_addc_co_u32_e32 v12, vcc, v12, v18, vcc
	v_addc_co_u32_e32 v13, vcc, 0, v17, vcc
	v_mul_lo_u32 v11, v10, v11
	v_add_co_u32_e32 v11, vcc, v12, v11
	v_addc_co_u32_e32 v12, vcc, 0, v13, vcc
	v_add_co_u32_e32 v5, vcc, v5, v11
	v_addc_co_u32_e32 v10, vcc, v10, v12, vcc
	v_mul_lo_u32 v11, s4, v10
	v_mul_hi_u32 v12, s4, v5
	v_add_u32_e32 v11, v12, v11
	v_mul_lo_u32 v12, s5, v5
	v_add_u32_e32 v11, v11, v12
	v_mul_lo_u32 v13, s4, v5
	v_mul_hi_u32 v16, v10, v13
	v_mul_lo_u32 v17, v10, v13
	v_mul_lo_u32 v19, v5, v11
	v_mul_hi_u32 v13, v5, v13
	v_mul_hi_u32 v18, v5, v11
	v_add_co_u32_e32 v13, vcc, v13, v19
	v_addc_co_u32_e32 v18, vcc, 0, v18, vcc
	v_add_co_u32_e32 v13, vcc, v13, v17
	v_mul_hi_u32 v12, v10, v11
	v_addc_co_u32_e32 v13, vcc, v18, v16, vcc
	v_addc_co_u32_e32 v12, vcc, 0, v12, vcc
	v_mul_lo_u32 v11, v10, v11
	v_add_co_u32_e32 v11, vcc, v13, v11
	v_addc_co_u32_e32 v12, vcc, 0, v12, vcc
	v_add_co_u32_e32 v5, vcc, v5, v11
	v_addc_co_u32_e32 v10, vcc, v10, v12, vcc
	v_ashrrev_i32_e32 v12, 31, v9
	v_add_co_u32_e32 v8, vcc, v8, v12
	v_addc_co_u32_e32 v9, vcc, v9, v12, vcc
	v_xor_b32_e32 v16, v8, v12
	v_xor_b32_e32 v13, v9, v12
	v_mad_u64_u32 v[8:9], s[4:5], v16, v10, 0
	v_mul_hi_u32 v11, v16, v5
	v_add_co_u32_e32 v17, vcc, v11, v8
	v_addc_co_u32_e32 v18, vcc, 0, v9, vcc
	v_mad_u64_u32 v[8:9], s[4:5], v13, v10, 0
	v_mad_u64_u32 v[10:11], s[4:5], v13, v5, 0
	v_add_co_u32_e32 v5, vcc, v17, v10
	v_addc_co_u32_e32 v5, vcc, v18, v11, vcc
	v_addc_co_u32_e32 v9, vcc, 0, v9, vcc
	v_add_co_u32_e32 v5, vcc, v5, v8
	v_addc_co_u32_e32 v8, vcc, 0, v9, vcc
	v_mul_lo_u32 v10, s41, v5
	v_mul_lo_u32 v11, s40, v8
	v_mad_u64_u32 v[8:9], s[4:5], s40, v5, 0
	v_add3_u32 v9, v9, v11, v10
	v_sub_u32_e32 v10, v13, v9
	v_mov_b32_e32 v11, s41
	v_sub_co_u32_e32 v8, vcc, v16, v8
	v_subb_co_u32_e64 v10, s[4:5], v10, v11, vcc
	v_subrev_co_u32_e64 v11, s[4:5], s40, v8
	v_subbrev_co_u32_e64 v10, s[4:5], 0, v10, s[4:5]
	v_cmp_le_u32_e64 s[4:5], s41, v10
	v_subb_co_u32_e32 v9, vcc, v13, v9, vcc
	v_cndmask_b32_e64 v16, 0, -1, s[4:5]
	v_cmp_le_u32_e64 s[4:5], s40, v11
	v_cmp_le_u32_e32 vcc, s41, v9
	v_cndmask_b32_e64 v11, 0, -1, s[4:5]
	v_cmp_eq_u32_e64 s[4:5], s41, v10
	v_cndmask_b32_e64 v13, 0, -1, vcc
	v_cmp_le_u32_e32 vcc, s40, v8
	v_cndmask_b32_e64 v10, v16, v11, s[4:5]
	v_cndmask_b32_e64 v8, 0, -1, vcc
	v_cmp_eq_u32_e32 vcc, s41, v9
	v_add_co_u32_e64 v11, s[4:5], 2, v5
	v_add_co_u32_e64 v16, s[4:5], 1, v5
	v_cndmask_b32_e32 v8, v13, v8, vcc
	v_cmp_ne_u32_e32 vcc, 0, v10
	v_cndmask_b32_e32 v9, v16, v11, vcc
	v_cmp_ne_u32_e32 vcc, 0, v8
	v_cndmask_b32_e32 v5, v5, v9, vcc
	v_xor_b32_e32 v8, s38, v12
	v_xor_b32_e32 v5, v5, v8
	v_sub_co_u32_e32 v10, vcc, v5, v8
                                        ; implicit-def: $vgpr8_vgpr9
.LBB6_20:                               ;   in Loop: Header=BB6_10 Depth=1
	s_andn2_saveexec_b64 s[4:5], s[36:37]
	s_cbranch_execz .LBB6_8
; %bb.21:                               ;   in Loop: Header=BB6_10 Depth=1
	v_cvt_f32_u32_e32 v5, s33
	s_sub_i32 s26, 0, s33
	v_rcp_iflag_f32_e32 v5, v5
	v_mul_f32_e32 v5, 0x4f7ffffe, v5
	v_cvt_u32_f32_e32 v5, v5
	v_mul_lo_u32 v9, s26, v5
	v_mul_hi_u32 v9, v5, v9
	v_add_u32_e32 v5, v5, v9
	v_mul_hi_u32 v5, v8, v5
	v_mul_lo_u32 v9, v5, s33
	v_sub_u32_e32 v8, v8, v9
	v_add_u32_e32 v10, 1, v5
	v_subrev_u32_e32 v9, s33, v8
	v_cmp_le_u32_e32 vcc, s33, v8
	v_cndmask_b32_e32 v8, v8, v9, vcc
	v_cndmask_b32_e32 v5, v5, v10, vcc
	v_add_u32_e32 v9, 1, v5
	v_cmp_le_u32_e32 vcc, s33, v8
	v_cndmask_b32_e32 v10, v5, v9, vcc
	s_branch .LBB6_8
.LBB6_22:
	s_or_b64 exec, exec, s[6:7]
; %bb.23:
	s_waitcnt lgkmcnt(0)
	s_barrier
	s_and_saveexec_b64 s[2:3], s[0:1]
	s_cbranch_execz .LBB6_26
; %bb.24:
	v_mad_u64_u32 v[4:5], s[0:1], s20, v0, 0
	v_mov_b32_e32 v6, v5
	v_and_b32_e32 v2, 0xffff, v7
	v_mad_u64_u32 v[6:7], s[0:1], s21, v0, v[6:7]
	v_mov_b32_e32 v5, v6
	v_mad_u64_u32 v[6:7], s[0:1], s20, v2, 0
	v_mov_b32_e32 v8, v7
	v_lshlrev_b64 v[4:5], 3, v[4:5]
	v_mad_u64_u32 v[8:9], s[0:1], s21, v2, v[8:9]
	v_mov_b32_e32 v3, s17
	v_add_co_u32_e32 v4, vcc, s16, v4
	v_mov_b32_e32 v7, v8
	v_addc_co_u32_e32 v5, vcc, v3, v5, vcc
	v_lshlrev_b64 v[6:7], 3, v[6:7]
	v_lshlrev_b32_e32 v3, 3, v15
	s_mov_b64 s[0:1], 0
.LBB6_25:                               ; =>This Inner Loop Header: Depth=1
	ds_read_b64 v[8:9], v14
	v_add_co_u32_e32 v0, vcc, v0, v2
	v_addc_co_u32_e32 v1, vcc, 0, v1, vcc
	s_waitcnt lgkmcnt(0)
	global_atomic_add_x2 v[4:5], v[8:9], off
	v_cmp_le_i64_e32 vcc, s[18:19], v[0:1]
	s_or_b64 s[0:1], vcc, s[0:1]
	v_add_co_u32_e32 v4, vcc, v4, v6
	v_add_u32_e32 v14, v14, v3
	v_addc_co_u32_e32 v5, vcc, v5, v7, vcc
	s_andn2_b64 exec, exec, s[0:1]
	s_cbranch_execnz .LBB6_25
.LBB6_26:
	s_endpgm
	.section	.rodata,"a",@progbits
	.p2align	6, 0x0
	.amdhsa_kernel _ZN2at4cuda17kernelHistogram1DIlhlLi1ELi2ELin1ELNS0_23CUDAHistogramMemoryTypeE0EZNS0_21CUDA_tensor_histogramIlhLb0EEEbNS_6TensorES4_S4_lNS_14AccumulateTypeIT0_Lb1EE4typeES8_NS0_13TensorArgTypeES9_S9_EUllE0_EEvNS0_6detail10TensorInfoIT_T1_EESF_NSC_IKS6_SE_EElS8_S8_SE_T6_
		.amdhsa_group_segment_fixed_size 0
		.amdhsa_private_segment_fixed_size 0
		.amdhsa_kernarg_size 1544
		.amdhsa_user_sgpr_count 6
		.amdhsa_user_sgpr_private_segment_buffer 1
		.amdhsa_user_sgpr_dispatch_ptr 0
		.amdhsa_user_sgpr_queue_ptr 0
		.amdhsa_user_sgpr_kernarg_segment_ptr 1
		.amdhsa_user_sgpr_dispatch_id 0
		.amdhsa_user_sgpr_flat_scratch_init 0
		.amdhsa_user_sgpr_kernarg_preload_length 0
		.amdhsa_user_sgpr_kernarg_preload_offset 0
		.amdhsa_user_sgpr_private_segment_size 0
		.amdhsa_uses_dynamic_stack 0
		.amdhsa_system_sgpr_private_segment_wavefront_offset 0
		.amdhsa_system_sgpr_workgroup_id_x 1
		.amdhsa_system_sgpr_workgroup_id_y 0
		.amdhsa_system_sgpr_workgroup_id_z 0
		.amdhsa_system_sgpr_workgroup_info 0
		.amdhsa_system_vgpr_workitem_id 0
		.amdhsa_next_free_vgpr 24
		.amdhsa_next_free_sgpr 46
		.amdhsa_accum_offset 24
		.amdhsa_reserve_vcc 1
		.amdhsa_reserve_flat_scratch 0
		.amdhsa_float_round_mode_32 0
		.amdhsa_float_round_mode_16_64 0
		.amdhsa_float_denorm_mode_32 3
		.amdhsa_float_denorm_mode_16_64 3
		.amdhsa_dx10_clamp 1
		.amdhsa_ieee_mode 1
		.amdhsa_fp16_overflow 0
		.amdhsa_tg_split 0
		.amdhsa_exception_fp_ieee_invalid_op 0
		.amdhsa_exception_fp_denorm_src 0
		.amdhsa_exception_fp_ieee_div_zero 0
		.amdhsa_exception_fp_ieee_overflow 0
		.amdhsa_exception_fp_ieee_underflow 0
		.amdhsa_exception_fp_ieee_inexact 0
		.amdhsa_exception_int_div_zero 0
	.end_amdhsa_kernel
	.section	.text._ZN2at4cuda17kernelHistogram1DIlhlLi1ELi2ELin1ELNS0_23CUDAHistogramMemoryTypeE0EZNS0_21CUDA_tensor_histogramIlhLb0EEEbNS_6TensorES4_S4_lNS_14AccumulateTypeIT0_Lb1EE4typeES8_NS0_13TensorArgTypeES9_S9_EUllE0_EEvNS0_6detail10TensorInfoIT_T1_EESF_NSC_IKS6_SE_EElS8_S8_SE_T6_,"axG",@progbits,_ZN2at4cuda17kernelHistogram1DIlhlLi1ELi2ELin1ELNS0_23CUDAHistogramMemoryTypeE0EZNS0_21CUDA_tensor_histogramIlhLb0EEEbNS_6TensorES4_S4_lNS_14AccumulateTypeIT0_Lb1EE4typeES8_NS0_13TensorArgTypeES9_S9_EUllE0_EEvNS0_6detail10TensorInfoIT_T1_EESF_NSC_IKS6_SE_EElS8_S8_SE_T6_,comdat
.Lfunc_end6:
	.size	_ZN2at4cuda17kernelHistogram1DIlhlLi1ELi2ELin1ELNS0_23CUDAHistogramMemoryTypeE0EZNS0_21CUDA_tensor_histogramIlhLb0EEEbNS_6TensorES4_S4_lNS_14AccumulateTypeIT0_Lb1EE4typeES8_NS0_13TensorArgTypeES9_S9_EUllE0_EEvNS0_6detail10TensorInfoIT_T1_EESF_NSC_IKS6_SE_EElS8_S8_SE_T6_, .Lfunc_end6-_ZN2at4cuda17kernelHistogram1DIlhlLi1ELi2ELin1ELNS0_23CUDAHistogramMemoryTypeE0EZNS0_21CUDA_tensor_histogramIlhLb0EEEbNS_6TensorES4_S4_lNS_14AccumulateTypeIT0_Lb1EE4typeES8_NS0_13TensorArgTypeES9_S9_EUllE0_EEvNS0_6detail10TensorInfoIT_T1_EESF_NSC_IKS6_SE_EElS8_S8_SE_T6_
                                        ; -- End function
	.section	.AMDGPU.csdata,"",@progbits
; Kernel info:
; codeLenInByte = 2492
; NumSgprs: 50
; NumVgprs: 24
; NumAgprs: 0
; TotalNumVgprs: 24
; ScratchSize: 0
; MemoryBound: 0
; FloatMode: 240
; IeeeMode: 1
; LDSByteSize: 0 bytes/workgroup (compile time only)
; SGPRBlocks: 6
; VGPRBlocks: 2
; NumSGPRsForWavesPerEU: 50
; NumVGPRsForWavesPerEU: 24
; AccumOffset: 24
; Occupancy: 8
; WaveLimiterHint : 1
; COMPUTE_PGM_RSRC2:SCRATCH_EN: 0
; COMPUTE_PGM_RSRC2:USER_SGPR: 6
; COMPUTE_PGM_RSRC2:TRAP_HANDLER: 0
; COMPUTE_PGM_RSRC2:TGID_X_EN: 1
; COMPUTE_PGM_RSRC2:TGID_Y_EN: 0
; COMPUTE_PGM_RSRC2:TGID_Z_EN: 0
; COMPUTE_PGM_RSRC2:TIDIG_COMP_CNT: 0
; COMPUTE_PGM_RSRC3_GFX90A:ACCUM_OFFSET: 5
; COMPUTE_PGM_RSRC3_GFX90A:TG_SPLIT: 0
	.section	.text._ZN2at4cuda17kernelHistogram1DIlhlLi1ELi2ELin1ELNS0_23CUDAHistogramMemoryTypeE1EZNS0_21CUDA_tensor_histogramIlhLb0EEEbNS_6TensorES4_S4_lNS_14AccumulateTypeIT0_Lb1EE4typeES8_NS0_13TensorArgTypeES9_S9_EUllE0_EEvNS0_6detail10TensorInfoIT_T1_EESF_NSC_IKS6_SE_EElS8_S8_SE_T6_,"axG",@progbits,_ZN2at4cuda17kernelHistogram1DIlhlLi1ELi2ELin1ELNS0_23CUDAHistogramMemoryTypeE1EZNS0_21CUDA_tensor_histogramIlhLb0EEEbNS_6TensorES4_S4_lNS_14AccumulateTypeIT0_Lb1EE4typeES8_NS0_13TensorArgTypeES9_S9_EUllE0_EEvNS0_6detail10TensorInfoIT_T1_EESF_NSC_IKS6_SE_EElS8_S8_SE_T6_,comdat
	.protected	_ZN2at4cuda17kernelHistogram1DIlhlLi1ELi2ELin1ELNS0_23CUDAHistogramMemoryTypeE1EZNS0_21CUDA_tensor_histogramIlhLb0EEEbNS_6TensorES4_S4_lNS_14AccumulateTypeIT0_Lb1EE4typeES8_NS0_13TensorArgTypeES9_S9_EUllE0_EEvNS0_6detail10TensorInfoIT_T1_EESF_NSC_IKS6_SE_EElS8_S8_SE_T6_ ; -- Begin function _ZN2at4cuda17kernelHistogram1DIlhlLi1ELi2ELin1ELNS0_23CUDAHistogramMemoryTypeE1EZNS0_21CUDA_tensor_histogramIlhLb0EEEbNS_6TensorES4_S4_lNS_14AccumulateTypeIT0_Lb1EE4typeES8_NS0_13TensorArgTypeES9_S9_EUllE0_EEvNS0_6detail10TensorInfoIT_T1_EESF_NSC_IKS6_SE_EElS8_S8_SE_T6_
	.globl	_ZN2at4cuda17kernelHistogram1DIlhlLi1ELi2ELin1ELNS0_23CUDAHistogramMemoryTypeE1EZNS0_21CUDA_tensor_histogramIlhLb0EEEbNS_6TensorES4_S4_lNS_14AccumulateTypeIT0_Lb1EE4typeES8_NS0_13TensorArgTypeES9_S9_EUllE0_EEvNS0_6detail10TensorInfoIT_T1_EESF_NSC_IKS6_SE_EElS8_S8_SE_T6_
	.p2align	8
	.type	_ZN2at4cuda17kernelHistogram1DIlhlLi1ELi2ELin1ELNS0_23CUDAHistogramMemoryTypeE1EZNS0_21CUDA_tensor_histogramIlhLb0EEEbNS_6TensorES4_S4_lNS_14AccumulateTypeIT0_Lb1EE4typeES8_NS0_13TensorArgTypeES9_S9_EUllE0_EEvNS0_6detail10TensorInfoIT_T1_EESF_NSC_IKS6_SE_EElS8_S8_SE_T6_,@function
_ZN2at4cuda17kernelHistogram1DIlhlLi1ELi2ELin1ELNS0_23CUDAHistogramMemoryTypeE1EZNS0_21CUDA_tensor_histogramIlhLb0EEEbNS_6TensorES4_S4_lNS_14AccumulateTypeIT0_Lb1EE4typeES8_NS0_13TensorArgTypeES9_S9_EUllE0_EEvNS0_6detail10TensorInfoIT_T1_EESF_NSC_IKS6_SE_EElS8_S8_SE_T6_: ; @_ZN2at4cuda17kernelHistogram1DIlhlLi1ELi2ELin1ELNS0_23CUDAHistogramMemoryTypeE1EZNS0_21CUDA_tensor_histogramIlhLb0EEEbNS_6TensorES4_S4_lNS_14AccumulateTypeIT0_Lb1EE4typeES8_NS0_13TensorArgTypeES9_S9_EUllE0_EEvNS0_6detail10TensorInfoIT_T1_EESF_NSC_IKS6_SE_EElS8_S8_SE_T6_
; %bb.0:
	s_load_dword s2, s[4:5], 0x514
	s_load_dwordx8 s[8:15], s[4:5], 0x4e0
	s_add_u32 s0, s4, 0x508
	s_addc_u32 s1, s5, 0
	v_mov_b32_e32 v2, 0
	s_waitcnt lgkmcnt(0)
	s_and_b32 s2, s2, 0xffff
	s_mul_i32 s6, s6, s2
	v_add_u32_e32 v0, s6, v0
	v_mov_b32_e32 v1, v2
	v_cmp_gt_i64_e32 vcc, s[14:15], v[0:1]
	s_and_saveexec_b64 s[6:7], vcc
	s_cbranch_execz .LBB7_16
; %bb.1:
	s_load_dword s3, s[4:5], 0x4d8
	s_load_dwordx2 s[6:7], s[4:5], 0x0
	s_load_dwordx2 s[16:17], s[4:5], 0xd0
	s_load_dword s24, s[0:1], 0x0
	s_add_u32 s22, s4, 0x340
	s_addc_u32 s23, s5, 0
	s_mov_b32 s38, 0
	s_waitcnt lgkmcnt(0)
	s_cmp_gt_i32 s3, 1
	s_cselect_b64 s[0:1], -1, 0
	s_sub_u32 s33, s12, s10
	s_subb_u32 s36, s13, s11
	s_mul_i32 s37, s24, s2
	s_add_i32 s39, s3, 1
	s_add_i32 s2, s3, -1
	s_mov_b32 s3, s38
	s_load_dwordx2 s[18:19], s[4:5], 0x410
	s_load_dwordx2 s[20:21], s[4:5], 0x340
	s_lshl_b64 s[2:3], s[2:3], 3
	s_add_u32 s2, s2, s22
	s_addc_u32 s3, s3, s23
	s_add_u32 s4, s2, 8
	v_cndmask_b32_e64 v3, 0, 1, s[0:1]
	s_addc_u32 s5, s3, 0
	s_mov_b64 s[22:23], 0
	v_cmp_ne_u32_e64 s[0:1], 1, v3
	s_branch .LBB7_4
.LBB7_2:                                ;   in Loop: Header=BB7_4 Depth=1
	s_or_b64 exec, exec, s[2:3]
	v_ashrrev_i32_e32 v7, 31, v6
	v_cmp_eq_u64_e32 vcc, s[8:9], v[6:7]
	v_cndmask_b32_e64 v3, 0, 1, vcc
	v_sub_co_u32_e32 v3, vcc, v6, v3
	v_subbrev_co_u32_e32 v4, vcc, 0, v7, vcc
	v_mul_lo_u32 v6, v4, s16
	v_mul_lo_u32 v7, v3, s17
	v_mad_u64_u32 v[4:5], s[2:3], v3, s16, 0
	v_add3_u32 v5, v5, v7, v6
	v_lshlrev_b64 v[4:5], 3, v[4:5]
	v_mov_b32_e32 v3, s7
	v_add_co_u32_e32 v4, vcc, s6, v4
	v_mov_b32_e32 v6, 1
	v_addc_co_u32_e32 v5, vcc, v3, v5, vcc
	v_mov_b32_e32 v7, 0
	global_atomic_add_x2 v[4:5], v[6:7], off
.LBB7_3:                                ;   in Loop: Header=BB7_4 Depth=1
	s_or_b64 exec, exec, s[24:25]
	v_mov_b32_e32 v3, s38
	v_add_co_u32_e32 v0, vcc, s37, v0
	v_addc_co_u32_e32 v1, vcc, v1, v3, vcc
	v_cmp_le_i64_e32 vcc, s[14:15], v[0:1]
	s_or_b64 s[22:23], vcc, s[22:23]
	s_andn2_b64 exec, exec, s[22:23]
	s_cbranch_execz .LBB7_16
.LBB7_4:                                ; =>This Loop Header: Depth=1
                                        ;     Child Loop BB7_5 Depth 2
	s_and_b64 vcc, exec, s[0:1]
	v_pk_mov_b32 v[4:5], 0, 0
	s_mov_b64 s[24:25], s[4:5]
	s_mov_b32 s40, s39
	v_pk_mov_b32 v[6:7], v[0:1], v[0:1] op_sel:[0,1]
	v_pk_mov_b32 v[8:9], v[0:1], v[0:1] op_sel:[0,1]
	s_cbranch_vccnz .LBB7_11
.LBB7_5:                                ;   Parent Loop BB7_4 Depth=1
                                        ; =>  This Inner Loop Header: Depth=2
	s_load_dwordx2 s[26:27], s[24:25], 0x0
                                        ; implicit-def: $vgpr8_vgpr9
	s_waitcnt lgkmcnt(0)
	v_or_b32_e32 v3, s27, v7
	v_cmp_ne_u64_e32 vcc, 0, v[2:3]
	s_and_saveexec_b64 s[2:3], vcc
	s_xor_b64 s[28:29], exec, s[2:3]
	s_cbranch_execz .LBB7_7
; %bb.6:                                ;   in Loop: Header=BB7_5 Depth=2
	s_ashr_i32 s30, s27, 31
	s_add_u32 s2, s26, s30
	s_mov_b32 s31, s30
	s_addc_u32 s3, s27, s30
	s_xor_b64 s[34:35], s[2:3], s[30:31]
	v_cvt_f32_u32_e32 v3, s34
	v_cvt_f32_u32_e32 v8, s35
	s_sub_u32 s2, 0, s34
	s_subb_u32 s3, 0, s35
	v_mac_f32_e32 v3, 0x4f800000, v8
	v_rcp_f32_e32 v3, v3
	v_mul_f32_e32 v3, 0x5f7ffffc, v3
	v_mul_f32_e32 v8, 0x2f800000, v3
	v_trunc_f32_e32 v8, v8
	v_mac_f32_e32 v3, 0xcf800000, v8
	v_cvt_u32_f32_e32 v8, v8
	v_cvt_u32_f32_e32 v3, v3
	v_mul_lo_u32 v9, s2, v8
	v_mul_hi_u32 v11, s2, v3
	v_mul_lo_u32 v10, s3, v3
	v_add_u32_e32 v9, v11, v9
	v_mul_lo_u32 v12, s2, v3
	v_add_u32_e32 v9, v9, v10
	v_mul_lo_u32 v11, v3, v9
	v_mul_hi_u32 v13, v3, v12
	v_mul_hi_u32 v10, v3, v9
	v_add_co_u32_e32 v11, vcc, v13, v11
	v_addc_co_u32_e32 v10, vcc, 0, v10, vcc
	v_mul_hi_u32 v14, v8, v12
	v_mul_lo_u32 v12, v8, v12
	v_add_co_u32_e32 v11, vcc, v11, v12
	v_mul_hi_u32 v13, v8, v9
	v_addc_co_u32_e32 v10, vcc, v10, v14, vcc
	v_addc_co_u32_e32 v11, vcc, 0, v13, vcc
	v_mul_lo_u32 v9, v8, v9
	v_add_co_u32_e32 v9, vcc, v10, v9
	v_addc_co_u32_e32 v10, vcc, 0, v11, vcc
	v_add_co_u32_e32 v3, vcc, v3, v9
	v_addc_co_u32_e32 v8, vcc, v8, v10, vcc
	v_mul_lo_u32 v9, s2, v8
	v_mul_hi_u32 v10, s2, v3
	v_add_u32_e32 v9, v10, v9
	v_mul_lo_u32 v10, s3, v3
	v_add_u32_e32 v9, v9, v10
	v_mul_lo_u32 v11, s2, v3
	v_mul_hi_u32 v12, v8, v11
	v_mul_lo_u32 v13, v8, v11
	v_mul_lo_u32 v15, v3, v9
	v_mul_hi_u32 v11, v3, v11
	v_mul_hi_u32 v14, v3, v9
	v_add_co_u32_e32 v11, vcc, v11, v15
	v_addc_co_u32_e32 v14, vcc, 0, v14, vcc
	v_add_co_u32_e32 v11, vcc, v11, v13
	v_mul_hi_u32 v10, v8, v9
	v_addc_co_u32_e32 v11, vcc, v14, v12, vcc
	v_addc_co_u32_e32 v10, vcc, 0, v10, vcc
	v_mul_lo_u32 v9, v8, v9
	v_add_co_u32_e32 v9, vcc, v11, v9
	v_addc_co_u32_e32 v10, vcc, 0, v10, vcc
	v_add_co_u32_e32 v3, vcc, v3, v9
	v_addc_co_u32_e32 v10, vcc, v8, v10, vcc
	v_ashrrev_i32_e32 v12, 31, v7
	v_add_co_u32_e32 v8, vcc, v6, v12
	v_addc_co_u32_e32 v9, vcc, v7, v12, vcc
	v_xor_b32_e32 v14, v8, v12
	v_xor_b32_e32 v13, v9, v12
	v_mad_u64_u32 v[8:9], s[2:3], v14, v10, 0
	v_mul_hi_u32 v11, v14, v3
	v_add_co_u32_e32 v15, vcc, v11, v8
	v_addc_co_u32_e32 v16, vcc, 0, v9, vcc
	v_mad_u64_u32 v[8:9], s[2:3], v13, v10, 0
	v_mad_u64_u32 v[10:11], s[2:3], v13, v3, 0
	v_add_co_u32_e32 v3, vcc, v15, v10
	v_addc_co_u32_e32 v3, vcc, v16, v11, vcc
	v_addc_co_u32_e32 v9, vcc, 0, v9, vcc
	v_add_co_u32_e32 v3, vcc, v3, v8
	v_addc_co_u32_e32 v10, vcc, 0, v9, vcc
	v_mul_lo_u32 v11, s35, v3
	v_mul_lo_u32 v15, s34, v10
	v_mad_u64_u32 v[8:9], s[2:3], s34, v3, 0
	v_add3_u32 v9, v9, v15, v11
	v_sub_u32_e32 v11, v13, v9
	v_mov_b32_e32 v15, s35
	v_sub_co_u32_e32 v8, vcc, v14, v8
	v_subb_co_u32_e64 v11, s[2:3], v11, v15, vcc
	v_subrev_co_u32_e64 v14, s[2:3], s34, v8
	v_subbrev_co_u32_e64 v11, s[2:3], 0, v11, s[2:3]
	v_cmp_le_u32_e64 s[2:3], s35, v11
	v_cndmask_b32_e64 v15, 0, -1, s[2:3]
	v_cmp_le_u32_e64 s[2:3], s34, v14
	v_cndmask_b32_e64 v14, 0, -1, s[2:3]
	v_cmp_eq_u32_e64 s[2:3], s35, v11
	v_cndmask_b32_e64 v11, v15, v14, s[2:3]
	v_add_co_u32_e64 v14, s[2:3], 2, v3
	v_subb_co_u32_e32 v9, vcc, v13, v9, vcc
	v_addc_co_u32_e64 v15, s[2:3], 0, v10, s[2:3]
	v_cmp_le_u32_e32 vcc, s35, v9
	v_add_co_u32_e64 v16, s[2:3], 1, v3
	v_cndmask_b32_e64 v13, 0, -1, vcc
	v_cmp_le_u32_e32 vcc, s34, v8
	v_addc_co_u32_e64 v17, s[2:3], 0, v10, s[2:3]
	v_cndmask_b32_e64 v8, 0, -1, vcc
	v_cmp_eq_u32_e32 vcc, s35, v9
	v_cmp_ne_u32_e64 s[2:3], 0, v11
	v_cndmask_b32_e32 v8, v13, v8, vcc
	v_cmp_ne_u32_e32 vcc, 0, v8
	v_cndmask_b32_e64 v9, v16, v14, s[2:3]
	v_cndmask_b32_e64 v11, v17, v15, s[2:3]
	v_cndmask_b32_e32 v3, v3, v9, vcc
	v_xor_b32_e32 v9, s30, v12
	v_cndmask_b32_e32 v8, v10, v11, vcc
	v_xor_b32_e32 v3, v3, v9
	v_xor_b32_e32 v10, v8, v9
	v_sub_co_u32_e32 v8, vcc, v3, v9
	v_subb_co_u32_e32 v9, vcc, v10, v9, vcc
.LBB7_7:                                ;   in Loop: Header=BB7_5 Depth=2
	s_andn2_saveexec_b64 s[2:3], s[28:29]
	s_cbranch_execz .LBB7_9
; %bb.8:                                ;   in Loop: Header=BB7_5 Depth=2
	v_cvt_f32_u32_e32 v3, s26
	s_sub_i32 s28, 0, s26
	v_rcp_iflag_f32_e32 v3, v3
	v_mul_f32_e32 v3, 0x4f7ffffe, v3
	v_cvt_u32_f32_e32 v3, v3
	v_mul_lo_u32 v8, s28, v3
	v_mul_hi_u32 v8, v3, v8
	v_add_u32_e32 v3, v3, v8
	v_mul_hi_u32 v3, v6, v3
	v_mul_lo_u32 v8, v3, s26
	v_sub_u32_e32 v8, v6, v8
	v_add_u32_e32 v9, 1, v3
	v_subrev_u32_e32 v10, s26, v8
	v_cmp_le_u32_e32 vcc, s26, v8
	v_cndmask_b32_e32 v8, v8, v10, vcc
	v_cndmask_b32_e32 v3, v3, v9, vcc
	v_add_u32_e32 v9, 1, v3
	v_cmp_le_u32_e32 vcc, s26, v8
	v_cndmask_b32_e32 v8, v3, v9, vcc
	v_mov_b32_e32 v9, v2
.LBB7_9:                                ;   in Loop: Header=BB7_5 Depth=2
	s_or_b64 exec, exec, s[2:3]
	v_mad_u64_u32 v[10:11], s[2:3], v8, s26, 0
	s_load_dwordx2 s[2:3], s[24:25], 0xc8
	v_mul_lo_u32 v3, v9, s26
	v_mul_lo_u32 v12, v8, s27
	v_add3_u32 v3, v11, v12, v3
	v_sub_co_u32_e32 v6, vcc, v6, v10
	s_add_i32 s40, s40, -1
	v_subb_co_u32_e32 v3, vcc, v7, v3, vcc
	s_add_u32 s24, s24, -8
	s_waitcnt lgkmcnt(0)
	v_mul_lo_u32 v3, s2, v3
	v_mul_lo_u32 v7, s3, v6
	v_mad_u64_u32 v[4:5], s[2:3], s2, v6, v[4:5]
	s_addc_u32 s25, s25, -1
	s_cmp_gt_u32 s40, 2
	v_add3_u32 v5, v7, v5, v3
	s_cbranch_scc0 .LBB7_11
; %bb.10:                               ;   in Loop: Header=BB7_5 Depth=2
	v_pk_mov_b32 v[6:7], v[8:9], v[8:9] op_sel:[0,1]
	s_branch .LBB7_5
.LBB7_11:                               ;   in Loop: Header=BB7_4 Depth=1
	s_waitcnt lgkmcnt(0)
	v_pk_mov_b32 v[6:7], s[20:21], s[20:21] op_sel:[0,1]
	v_mad_u64_u32 v[6:7], s[2:3], s18, v8, v[6:7]
	v_mul_lo_u32 v3, s18, v9
	v_mul_lo_u32 v8, s19, v8
	v_add3_u32 v3, v8, v7, v3
	v_add_co_u32_e32 v4, vcc, v6, v4
	v_addc_co_u32_e32 v5, vcc, v3, v5, vcc
	global_load_ubyte v3, v[4:5], off
	v_mov_b32_e32 v5, s38
	s_waitcnt vmcnt(0)
	v_and_b32_e32 v4, 0xffff, v3
	v_cmp_le_i64_e32 vcc, s[10:11], v[4:5]
	v_cmp_ge_i64_e64 s[2:3], s[12:13], v[4:5]
	s_and_b64 s[2:3], vcc, s[2:3]
	s_and_saveexec_b64 s[24:25], s[2:3]
	s_cbranch_execz .LBB7_3
; %bb.12:                               ;   in Loop: Header=BB7_4 Depth=1
	v_mov_b32_e32 v3, s11
	v_subrev_co_u32_e32 v4, vcc, s10, v4
	v_subb_co_u32_e32 v3, vcc, 0, v3, vcc
	v_mul_lo_u32 v3, v3, s8
	v_mul_lo_u32 v6, v4, s9
	v_mad_u64_u32 v[4:5], s[2:3], v4, s8, 0
	v_add3_u32 v5, v5, v6, v3
	v_or_b32_e32 v3, s36, v5
	v_cmp_ne_u64_e32 vcc, 0, v[2:3]
                                        ; implicit-def: $vgpr6_vgpr7
	s_and_saveexec_b64 s[2:3], vcc
	s_xor_b64 s[26:27], exec, s[2:3]
	s_cbranch_execz .LBB7_14
; %bb.13:                               ;   in Loop: Header=BB7_4 Depth=1
	s_ashr_i32 s28, s36, 31
	s_add_u32 s2, s33, s28
	s_mov_b32 s29, s28
	s_addc_u32 s3, s36, s28
	s_xor_b64 s[30:31], s[2:3], s[28:29]
	v_cvt_f32_u32_e32 v3, s30
	v_cvt_f32_u32_e32 v6, s31
	s_sub_u32 s2, 0, s30
	s_subb_u32 s3, 0, s31
	v_mac_f32_e32 v3, 0x4f800000, v6
	v_rcp_f32_e32 v3, v3
	v_mul_f32_e32 v3, 0x5f7ffffc, v3
	v_mul_f32_e32 v6, 0x2f800000, v3
	v_trunc_f32_e32 v6, v6
	v_mac_f32_e32 v3, 0xcf800000, v6
	v_cvt_u32_f32_e32 v6, v6
	v_cvt_u32_f32_e32 v3, v3
	v_mul_lo_u32 v7, s2, v6
	v_mul_hi_u32 v9, s2, v3
	v_mul_lo_u32 v8, s3, v3
	v_add_u32_e32 v7, v9, v7
	v_mul_lo_u32 v10, s2, v3
	v_add_u32_e32 v7, v7, v8
	v_mul_lo_u32 v9, v3, v7
	v_mul_hi_u32 v11, v3, v10
	v_mul_hi_u32 v8, v3, v7
	v_add_co_u32_e32 v9, vcc, v11, v9
	v_addc_co_u32_e32 v8, vcc, 0, v8, vcc
	v_mul_hi_u32 v12, v6, v10
	v_mul_lo_u32 v10, v6, v10
	v_add_co_u32_e32 v9, vcc, v9, v10
	v_mul_hi_u32 v11, v6, v7
	v_addc_co_u32_e32 v8, vcc, v8, v12, vcc
	v_addc_co_u32_e32 v9, vcc, 0, v11, vcc
	v_mul_lo_u32 v7, v6, v7
	v_add_co_u32_e32 v7, vcc, v8, v7
	v_addc_co_u32_e32 v8, vcc, 0, v9, vcc
	v_add_co_u32_e32 v3, vcc, v3, v7
	v_addc_co_u32_e32 v6, vcc, v6, v8, vcc
	v_mul_lo_u32 v7, s2, v6
	v_mul_hi_u32 v8, s2, v3
	v_add_u32_e32 v7, v8, v7
	v_mul_lo_u32 v8, s3, v3
	v_add_u32_e32 v7, v7, v8
	v_mul_lo_u32 v9, s2, v3
	v_mul_hi_u32 v10, v6, v9
	v_mul_lo_u32 v11, v6, v9
	v_mul_lo_u32 v13, v3, v7
	v_mul_hi_u32 v9, v3, v9
	v_mul_hi_u32 v12, v3, v7
	v_add_co_u32_e32 v9, vcc, v9, v13
	v_addc_co_u32_e32 v12, vcc, 0, v12, vcc
	v_add_co_u32_e32 v9, vcc, v9, v11
	v_mul_hi_u32 v8, v6, v7
	v_addc_co_u32_e32 v9, vcc, v12, v10, vcc
	v_addc_co_u32_e32 v8, vcc, 0, v8, vcc
	v_mul_lo_u32 v7, v6, v7
	v_add_co_u32_e32 v7, vcc, v9, v7
	v_addc_co_u32_e32 v8, vcc, 0, v8, vcc
	v_add_co_u32_e32 v3, vcc, v3, v7
	v_addc_co_u32_e32 v6, vcc, v6, v8, vcc
	v_ashrrev_i32_e32 v8, 31, v5
	v_add_co_u32_e32 v4, vcc, v4, v8
	v_addc_co_u32_e32 v5, vcc, v5, v8, vcc
	v_xor_b32_e32 v10, v4, v8
	v_xor_b32_e32 v9, v5, v8
	v_mad_u64_u32 v[4:5], s[2:3], v10, v6, 0
	v_mul_hi_u32 v7, v10, v3
	v_add_co_u32_e32 v11, vcc, v7, v4
	v_addc_co_u32_e32 v12, vcc, 0, v5, vcc
	v_mad_u64_u32 v[4:5], s[2:3], v9, v6, 0
	v_mad_u64_u32 v[6:7], s[2:3], v9, v3, 0
	v_add_co_u32_e32 v3, vcc, v11, v6
	v_addc_co_u32_e32 v3, vcc, v12, v7, vcc
	v_addc_co_u32_e32 v5, vcc, 0, v5, vcc
	v_add_co_u32_e32 v3, vcc, v3, v4
	v_addc_co_u32_e32 v4, vcc, 0, v5, vcc
	v_mul_lo_u32 v6, s31, v3
	v_mul_lo_u32 v7, s30, v4
	v_mad_u64_u32 v[4:5], s[2:3], s30, v3, 0
	v_add3_u32 v5, v5, v7, v6
	v_sub_u32_e32 v6, v9, v5
	v_mov_b32_e32 v7, s31
	v_sub_co_u32_e32 v4, vcc, v10, v4
	v_subb_co_u32_e64 v6, s[2:3], v6, v7, vcc
	v_subrev_co_u32_e64 v7, s[2:3], s30, v4
	v_subbrev_co_u32_e64 v6, s[2:3], 0, v6, s[2:3]
	v_cmp_le_u32_e64 s[2:3], s31, v6
	v_subb_co_u32_e32 v5, vcc, v9, v5, vcc
	v_cndmask_b32_e64 v10, 0, -1, s[2:3]
	v_cmp_le_u32_e64 s[2:3], s30, v7
	v_cmp_le_u32_e32 vcc, s31, v5
	v_cndmask_b32_e64 v7, 0, -1, s[2:3]
	v_cmp_eq_u32_e64 s[2:3], s31, v6
	v_cndmask_b32_e64 v9, 0, -1, vcc
	v_cmp_le_u32_e32 vcc, s30, v4
	v_cndmask_b32_e64 v6, v10, v7, s[2:3]
	v_cndmask_b32_e64 v4, 0, -1, vcc
	v_cmp_eq_u32_e32 vcc, s31, v5
	v_add_co_u32_e64 v7, s[2:3], 2, v3
	v_add_co_u32_e64 v10, s[2:3], 1, v3
	v_cndmask_b32_e32 v4, v9, v4, vcc
	v_cmp_ne_u32_e32 vcc, 0, v6
	v_cndmask_b32_e32 v5, v10, v7, vcc
	v_cmp_ne_u32_e32 vcc, 0, v4
	v_cndmask_b32_e32 v3, v3, v5, vcc
	v_xor_b32_e32 v4, s28, v8
	v_xor_b32_e32 v3, v3, v4
	v_sub_co_u32_e32 v6, vcc, v3, v4
                                        ; implicit-def: $vgpr4_vgpr5
.LBB7_14:                               ;   in Loop: Header=BB7_4 Depth=1
	s_andn2_saveexec_b64 s[2:3], s[26:27]
	s_cbranch_execz .LBB7_2
; %bb.15:                               ;   in Loop: Header=BB7_4 Depth=1
	v_cvt_f32_u32_e32 v3, s33
	s_sub_i32 s26, 0, s33
	v_rcp_iflag_f32_e32 v3, v3
	v_mul_f32_e32 v3, 0x4f7ffffe, v3
	v_cvt_u32_f32_e32 v3, v3
	v_mul_lo_u32 v5, s26, v3
	v_mul_hi_u32 v5, v3, v5
	v_add_u32_e32 v3, v3, v5
	v_mul_hi_u32 v3, v4, v3
	v_mul_lo_u32 v5, v3, s33
	v_sub_u32_e32 v4, v4, v5
	v_add_u32_e32 v6, 1, v3
	v_subrev_u32_e32 v5, s33, v4
	v_cmp_le_u32_e32 vcc, s33, v4
	v_cndmask_b32_e32 v4, v4, v5, vcc
	v_cndmask_b32_e32 v3, v3, v6, vcc
	v_add_u32_e32 v5, 1, v3
	v_cmp_le_u32_e32 vcc, s33, v4
	v_cndmask_b32_e32 v6, v3, v5, vcc
	s_branch .LBB7_2
.LBB7_16:
	s_endpgm
	.section	.rodata,"a",@progbits
	.p2align	6, 0x0
	.amdhsa_kernel _ZN2at4cuda17kernelHistogram1DIlhlLi1ELi2ELin1ELNS0_23CUDAHistogramMemoryTypeE1EZNS0_21CUDA_tensor_histogramIlhLb0EEEbNS_6TensorES4_S4_lNS_14AccumulateTypeIT0_Lb1EE4typeES8_NS0_13TensorArgTypeES9_S9_EUllE0_EEvNS0_6detail10TensorInfoIT_T1_EESF_NSC_IKS6_SE_EElS8_S8_SE_T6_
		.amdhsa_group_segment_fixed_size 0
		.amdhsa_private_segment_fixed_size 0
		.amdhsa_kernarg_size 1544
		.amdhsa_user_sgpr_count 6
		.amdhsa_user_sgpr_private_segment_buffer 1
		.amdhsa_user_sgpr_dispatch_ptr 0
		.amdhsa_user_sgpr_queue_ptr 0
		.amdhsa_user_sgpr_kernarg_segment_ptr 1
		.amdhsa_user_sgpr_dispatch_id 0
		.amdhsa_user_sgpr_flat_scratch_init 0
		.amdhsa_user_sgpr_kernarg_preload_length 0
		.amdhsa_user_sgpr_kernarg_preload_offset 0
		.amdhsa_user_sgpr_private_segment_size 0
		.amdhsa_uses_dynamic_stack 0
		.amdhsa_system_sgpr_private_segment_wavefront_offset 0
		.amdhsa_system_sgpr_workgroup_id_x 1
		.amdhsa_system_sgpr_workgroup_id_y 0
		.amdhsa_system_sgpr_workgroup_id_z 0
		.amdhsa_system_sgpr_workgroup_info 0
		.amdhsa_system_vgpr_workitem_id 0
		.amdhsa_next_free_vgpr 18
		.amdhsa_next_free_sgpr 41
		.amdhsa_accum_offset 20
		.amdhsa_reserve_vcc 1
		.amdhsa_reserve_flat_scratch 0
		.amdhsa_float_round_mode_32 0
		.amdhsa_float_round_mode_16_64 0
		.amdhsa_float_denorm_mode_32 3
		.amdhsa_float_denorm_mode_16_64 3
		.amdhsa_dx10_clamp 1
		.amdhsa_ieee_mode 1
		.amdhsa_fp16_overflow 0
		.amdhsa_tg_split 0
		.amdhsa_exception_fp_ieee_invalid_op 0
		.amdhsa_exception_fp_denorm_src 0
		.amdhsa_exception_fp_ieee_div_zero 0
		.amdhsa_exception_fp_ieee_overflow 0
		.amdhsa_exception_fp_ieee_underflow 0
		.amdhsa_exception_fp_ieee_inexact 0
		.amdhsa_exception_int_div_zero 0
	.end_amdhsa_kernel
	.section	.text._ZN2at4cuda17kernelHistogram1DIlhlLi1ELi2ELin1ELNS0_23CUDAHistogramMemoryTypeE1EZNS0_21CUDA_tensor_histogramIlhLb0EEEbNS_6TensorES4_S4_lNS_14AccumulateTypeIT0_Lb1EE4typeES8_NS0_13TensorArgTypeES9_S9_EUllE0_EEvNS0_6detail10TensorInfoIT_T1_EESF_NSC_IKS6_SE_EElS8_S8_SE_T6_,"axG",@progbits,_ZN2at4cuda17kernelHistogram1DIlhlLi1ELi2ELin1ELNS0_23CUDAHistogramMemoryTypeE1EZNS0_21CUDA_tensor_histogramIlhLb0EEEbNS_6TensorES4_S4_lNS_14AccumulateTypeIT0_Lb1EE4typeES8_NS0_13TensorArgTypeES9_S9_EUllE0_EEvNS0_6detail10TensorInfoIT_T1_EESF_NSC_IKS6_SE_EElS8_S8_SE_T6_,comdat
.Lfunc_end7:
	.size	_ZN2at4cuda17kernelHistogram1DIlhlLi1ELi2ELin1ELNS0_23CUDAHistogramMemoryTypeE1EZNS0_21CUDA_tensor_histogramIlhLb0EEEbNS_6TensorES4_S4_lNS_14AccumulateTypeIT0_Lb1EE4typeES8_NS0_13TensorArgTypeES9_S9_EUllE0_EEvNS0_6detail10TensorInfoIT_T1_EESF_NSC_IKS6_SE_EElS8_S8_SE_T6_, .Lfunc_end7-_ZN2at4cuda17kernelHistogram1DIlhlLi1ELi2ELin1ELNS0_23CUDAHistogramMemoryTypeE1EZNS0_21CUDA_tensor_histogramIlhLb0EEEbNS_6TensorES4_S4_lNS_14AccumulateTypeIT0_Lb1EE4typeES8_NS0_13TensorArgTypeES9_S9_EUllE0_EEvNS0_6detail10TensorInfoIT_T1_EESF_NSC_IKS6_SE_EElS8_S8_SE_T6_
                                        ; -- End function
	.section	.AMDGPU.csdata,"",@progbits
; Kernel info:
; codeLenInByte = 2208
; NumSgprs: 45
; NumVgprs: 18
; NumAgprs: 0
; TotalNumVgprs: 18
; ScratchSize: 0
; MemoryBound: 0
; FloatMode: 240
; IeeeMode: 1
; LDSByteSize: 0 bytes/workgroup (compile time only)
; SGPRBlocks: 5
; VGPRBlocks: 2
; NumSGPRsForWavesPerEU: 45
; NumVGPRsForWavesPerEU: 18
; AccumOffset: 20
; Occupancy: 8
; WaveLimiterHint : 1
; COMPUTE_PGM_RSRC2:SCRATCH_EN: 0
; COMPUTE_PGM_RSRC2:USER_SGPR: 6
; COMPUTE_PGM_RSRC2:TRAP_HANDLER: 0
; COMPUTE_PGM_RSRC2:TGID_X_EN: 1
; COMPUTE_PGM_RSRC2:TGID_Y_EN: 0
; COMPUTE_PGM_RSRC2:TGID_Z_EN: 0
; COMPUTE_PGM_RSRC2:TIDIG_COMP_CNT: 0
; COMPUTE_PGM_RSRC3_GFX90A:ACCUM_OFFSET: 4
; COMPUTE_PGM_RSRC3_GFX90A:TG_SPLIT: 0
	.section	.text._ZN2at4cuda17kernelHistogram1DIdhlLi1ELi2ELin1ELNS0_23CUDAHistogramMemoryTypeE0EZNS0_21CUDA_tensor_histogramIdhLb1EEEbNS_6TensorES4_S4_lNS_14AccumulateTypeIT0_Lb1EE4typeES8_NS0_13TensorArgTypeES9_S9_EUllE_EEvNS0_6detail10TensorInfoIT_T1_EESF_NSC_IKS6_SE_EElS8_S8_SE_T6_,"axG",@progbits,_ZN2at4cuda17kernelHistogram1DIdhlLi1ELi2ELin1ELNS0_23CUDAHistogramMemoryTypeE0EZNS0_21CUDA_tensor_histogramIdhLb1EEEbNS_6TensorES4_S4_lNS_14AccumulateTypeIT0_Lb1EE4typeES8_NS0_13TensorArgTypeES9_S9_EUllE_EEvNS0_6detail10TensorInfoIT_T1_EESF_NSC_IKS6_SE_EElS8_S8_SE_T6_,comdat
	.protected	_ZN2at4cuda17kernelHistogram1DIdhlLi1ELi2ELin1ELNS0_23CUDAHistogramMemoryTypeE0EZNS0_21CUDA_tensor_histogramIdhLb1EEEbNS_6TensorES4_S4_lNS_14AccumulateTypeIT0_Lb1EE4typeES8_NS0_13TensorArgTypeES9_S9_EUllE_EEvNS0_6detail10TensorInfoIT_T1_EESF_NSC_IKS6_SE_EElS8_S8_SE_T6_ ; -- Begin function _ZN2at4cuda17kernelHistogram1DIdhlLi1ELi2ELin1ELNS0_23CUDAHistogramMemoryTypeE0EZNS0_21CUDA_tensor_histogramIdhLb1EEEbNS_6TensorES4_S4_lNS_14AccumulateTypeIT0_Lb1EE4typeES8_NS0_13TensorArgTypeES9_S9_EUllE_EEvNS0_6detail10TensorInfoIT_T1_EESF_NSC_IKS6_SE_EElS8_S8_SE_T6_
	.globl	_ZN2at4cuda17kernelHistogram1DIdhlLi1ELi2ELin1ELNS0_23CUDAHistogramMemoryTypeE0EZNS0_21CUDA_tensor_histogramIdhLb1EEEbNS_6TensorES4_S4_lNS_14AccumulateTypeIT0_Lb1EE4typeES8_NS0_13TensorArgTypeES9_S9_EUllE_EEvNS0_6detail10TensorInfoIT_T1_EESF_NSC_IKS6_SE_EElS8_S8_SE_T6_
	.p2align	8
	.type	_ZN2at4cuda17kernelHistogram1DIdhlLi1ELi2ELin1ELNS0_23CUDAHistogramMemoryTypeE0EZNS0_21CUDA_tensor_histogramIdhLb1EEEbNS_6TensorES4_S4_lNS_14AccumulateTypeIT0_Lb1EE4typeES8_NS0_13TensorArgTypeES9_S9_EUllE_EEvNS0_6detail10TensorInfoIT_T1_EESF_NSC_IKS6_SE_EElS8_S8_SE_T6_,@function
_ZN2at4cuda17kernelHistogram1DIdhlLi1ELi2ELin1ELNS0_23CUDAHistogramMemoryTypeE0EZNS0_21CUDA_tensor_histogramIdhLb1EEEbNS_6TensorES4_S4_lNS_14AccumulateTypeIT0_Lb1EE4typeES8_NS0_13TensorArgTypeES9_S9_EUllE_EEvNS0_6detail10TensorInfoIT_T1_EESF_NSC_IKS6_SE_EElS8_S8_SE_T6_: ; @_ZN2at4cuda17kernelHistogram1DIdhlLi1ELi2ELin1ELNS0_23CUDAHistogramMemoryTypeE0EZNS0_21CUDA_tensor_histogramIdhLb1EEEbNS_6TensorES4_S4_lNS_14AccumulateTypeIT0_Lb1EE4typeES8_NS0_13TensorArgTypeES9_S9_EUllE_EEvNS0_6detail10TensorInfoIT_T1_EESF_NSC_IKS6_SE_EElS8_S8_SE_T6_
; %bb.0:
	s_load_dwordx4 s[16:19], s[4:5], 0x0
	s_load_dwordx2 s[20:21], s[4:5], 0x500
	s_load_dwordx8 s[8:15], s[4:5], 0x4e0
	v_mov_b32_e32 v1, 0
	s_add_u32 s2, s4, 0x6a0
	s_waitcnt lgkmcnt(0)
	v_cmp_gt_i64_e64 s[0:1], s[18:19], v[0:1]
	v_cmp_le_i64_e32 vcc, s[18:19], v[0:1]
	s_addc_u32 s3, s5, 0
                                        ; implicit-def: $sgpr7
                                        ; implicit-def: $sgpr28
	s_and_saveexec_b64 s[22:23], vcc
	s_xor_b64 s[22:23], exec, s[22:23]
	s_cbranch_execz .LBB8_2
; %bb.1:
	s_load_dword s7, s[2:3], 0xc
	s_waitcnt lgkmcnt(0)
	s_and_b32 s28, s7, 0xffff
.LBB8_2:
	s_or_saveexec_b64 s[26:27], s[22:23]
	s_load_dwordx2 s[22:23], s[4:5], 0xd0
	s_load_dwordx2 s[24:25], s[4:5], 0x5d0
	v_mov_b32_e32 v7, s7
	v_mov_b32_e32 v15, s28
	v_lshl_add_u32 v14, v0, 3, 0
	s_xor_b64 exec, exec, s[26:27]
	s_cbranch_execz .LBB8_6
; %bb.3:
	s_load_dword s7, s[2:3], 0xc
	s_mov_b32 s33, 0
	v_mov_b32_e32 v2, 0
	v_lshl_add_u32 v6, v0, 3, 0
	s_mov_b64 s[28:29], 0
	s_waitcnt lgkmcnt(0)
	s_and_b32 s30, s7, 0xffff
	s_lshl_b32 s31, s30, 3
	v_mov_b32_e32 v3, v2
	v_mov_b32_e32 v7, s33
	v_pk_mov_b32 v[4:5], v[0:1], v[0:1] op_sel:[0,1]
.LBB8_4:                                ; =>This Inner Loop Header: Depth=1
	v_add_co_u32_e32 v4, vcc, s30, v4
	v_addc_co_u32_e32 v5, vcc, v5, v7, vcc
	v_cmp_le_i64_e32 vcc, s[18:19], v[4:5]
	ds_write_b64 v6, v[2:3]
	s_or_b64 s[28:29], vcc, s[28:29]
	v_add_u32_e32 v6, s31, v6
	s_andn2_b64 exec, exec, s[28:29]
	s_cbranch_execnz .LBB8_4
; %bb.5:
	s_or_b64 exec, exec, s[28:29]
	v_mov_b32_e32 v7, s7
	v_mov_b32_e32 v15, s30
.LBB8_6:
	s_or_b64 exec, exec, s[26:27]
	v_mad_u64_u32 v[2:3], s[6:7], s6, v15, v[0:1]
	v_mov_b32_e32 v4, 0
	v_mov_b32_e32 v3, v4
	v_cmp_gt_i64_e32 vcc, s[14:15], v[2:3]
	s_waitcnt lgkmcnt(0)
	s_barrier
	s_and_saveexec_b64 s[6:7], vcc
	s_cbranch_execz .LBB8_22
; %bb.7:
	s_load_dword s30, s[4:5], 0x4d8
	s_load_dwordx2 s[26:27], s[4:5], 0x410
	s_load_dwordx2 s[28:29], s[4:5], 0x340
	s_load_dword s31, s[2:3], 0x0
	s_add_u32 s34, s4, 0x340
	s_addc_u32 s35, s5, 0
	s_waitcnt lgkmcnt(0)
	s_cmp_gt_i32 s30, 1
	s_cselect_b64 s[2:3], -1, 0
	s_sub_u32 s33, s12, s10
	s_subb_u32 s50, s13, s11
	v_mul_lo_u32 v6, s31, v15
	s_mov_b32 s31, 0
	s_add_i32 s51, s30, 1
	s_add_i32 s30, s30, -1
	s_lshl_b64 s[4:5], s[30:31], 3
	s_add_u32 s4, s4, s34
	s_addc_u32 s5, s5, s35
	s_add_u32 s34, s4, 8
	v_cndmask_b32_e64 v5, 0, 1, s[2:3]
	s_addc_u32 s35, s5, 0
	s_mov_b64 s[36:37], 0
	v_cmp_ne_u32_e64 s[2:3], 1, v5
	s_mov_b64 s[38:39], src_shared_base
	s_branch .LBB8_10
.LBB8_8:                                ;   in Loop: Header=BB8_10 Depth=1
	s_or_b64 exec, exec, s[4:5]
	v_mul_lo_u32 v5, v3, s24
	v_mul_lo_u32 v11, v2, s25
	v_mad_u64_u32 v[8:9], s[4:5], v2, s24, 0
	v_add3_u32 v9, v9, v11, v5
	v_lshlrev_b64 v[8:9], 3, v[8:9]
	v_mov_b32_e32 v5, s21
	v_add_co_u32_e32 v8, vcc, s20, v8
	v_addc_co_u32_e32 v9, vcc, v5, v9, vcc
	global_load_dwordx2 v[8:9], v[8:9], off
	v_ashrrev_i32_e32 v11, 31, v10
	v_cmp_eq_u64_e32 vcc, s[8:9], v[10:11]
	v_subbrev_co_u32_e32 v5, vcc, 0, v10, vcc
	v_lshl_add_u32 v10, v5, 3, 0
	v_mov_b32_e32 v11, s39
	s_waitcnt vmcnt(0)
	flat_atomic_add_f64 v[10:11], v[8:9]
.LBB8_9:                                ;   in Loop: Header=BB8_10 Depth=1
	s_or_b64 exec, exec, s[40:41]
	v_add_co_u32_e32 v2, vcc, v2, v6
	v_addc_co_u32_e32 v3, vcc, 0, v3, vcc
	v_cmp_le_i64_e32 vcc, s[14:15], v[2:3]
	s_or_b64 s[36:37], vcc, s[36:37]
	s_andn2_b64 exec, exec, s[36:37]
	s_cbranch_execz .LBB8_22
.LBB8_10:                               ; =>This Loop Header: Depth=1
                                        ;     Child Loop BB8_11 Depth 2
	s_and_b64 vcc, exec, s[2:3]
	v_pk_mov_b32 v[8:9], 0, 0
	s_mov_b64 s[40:41], s[34:35]
	s_mov_b32 s30, s51
	v_pk_mov_b32 v[10:11], v[2:3], v[2:3] op_sel:[0,1]
	v_pk_mov_b32 v[12:13], v[2:3], v[2:3] op_sel:[0,1]
	s_cbranch_vccnz .LBB8_17
.LBB8_11:                               ;   Parent Loop BB8_10 Depth=1
                                        ; =>  This Inner Loop Header: Depth=2
	s_load_dwordx2 s[42:43], s[40:41], 0x0
                                        ; implicit-def: $vgpr12_vgpr13
	s_waitcnt lgkmcnt(0)
	v_or_b32_e32 v5, s43, v11
	v_cmp_ne_u64_e32 vcc, 0, v[4:5]
	s_and_saveexec_b64 s[4:5], vcc
	s_xor_b64 s[44:45], exec, s[4:5]
	s_cbranch_execz .LBB8_13
; %bb.12:                               ;   in Loop: Header=BB8_11 Depth=2
	s_ashr_i32 s46, s43, 31
	s_add_u32 s4, s42, s46
	s_mov_b32 s47, s46
	s_addc_u32 s5, s43, s46
	s_xor_b64 s[48:49], s[4:5], s[46:47]
	v_cvt_f32_u32_e32 v5, s48
	v_cvt_f32_u32_e32 v12, s49
	s_sub_u32 s4, 0, s48
	s_subb_u32 s5, 0, s49
	v_mac_f32_e32 v5, 0x4f800000, v12
	v_rcp_f32_e32 v5, v5
	v_mul_f32_e32 v5, 0x5f7ffffc, v5
	v_mul_f32_e32 v12, 0x2f800000, v5
	v_trunc_f32_e32 v12, v12
	v_mac_f32_e32 v5, 0xcf800000, v12
	v_cvt_u32_f32_e32 v12, v12
	v_cvt_u32_f32_e32 v5, v5
	v_mul_lo_u32 v13, s4, v12
	v_mul_hi_u32 v17, s4, v5
	v_mul_lo_u32 v16, s5, v5
	v_add_u32_e32 v13, v17, v13
	v_mul_lo_u32 v18, s4, v5
	v_add_u32_e32 v13, v13, v16
	v_mul_lo_u32 v17, v5, v13
	v_mul_hi_u32 v19, v5, v18
	v_mul_hi_u32 v16, v5, v13
	v_add_co_u32_e32 v17, vcc, v19, v17
	v_addc_co_u32_e32 v16, vcc, 0, v16, vcc
	v_mul_hi_u32 v20, v12, v18
	v_mul_lo_u32 v18, v12, v18
	v_add_co_u32_e32 v17, vcc, v17, v18
	v_mul_hi_u32 v19, v12, v13
	v_addc_co_u32_e32 v16, vcc, v16, v20, vcc
	v_addc_co_u32_e32 v17, vcc, 0, v19, vcc
	v_mul_lo_u32 v13, v12, v13
	v_add_co_u32_e32 v13, vcc, v16, v13
	v_addc_co_u32_e32 v16, vcc, 0, v17, vcc
	v_add_co_u32_e32 v5, vcc, v5, v13
	v_addc_co_u32_e32 v12, vcc, v12, v16, vcc
	v_mul_lo_u32 v13, s4, v12
	v_mul_hi_u32 v16, s4, v5
	v_add_u32_e32 v13, v16, v13
	v_mul_lo_u32 v16, s5, v5
	v_add_u32_e32 v13, v13, v16
	v_mul_lo_u32 v17, s4, v5
	v_mul_hi_u32 v18, v12, v17
	v_mul_lo_u32 v19, v12, v17
	v_mul_lo_u32 v21, v5, v13
	v_mul_hi_u32 v17, v5, v17
	v_mul_hi_u32 v20, v5, v13
	v_add_co_u32_e32 v17, vcc, v17, v21
	v_addc_co_u32_e32 v20, vcc, 0, v20, vcc
	v_add_co_u32_e32 v17, vcc, v17, v19
	v_mul_hi_u32 v16, v12, v13
	v_addc_co_u32_e32 v17, vcc, v20, v18, vcc
	v_addc_co_u32_e32 v16, vcc, 0, v16, vcc
	v_mul_lo_u32 v13, v12, v13
	v_add_co_u32_e32 v13, vcc, v17, v13
	v_addc_co_u32_e32 v16, vcc, 0, v16, vcc
	v_add_co_u32_e32 v5, vcc, v5, v13
	v_addc_co_u32_e32 v16, vcc, v12, v16, vcc
	v_ashrrev_i32_e32 v18, 31, v11
	v_add_co_u32_e32 v12, vcc, v10, v18
	v_addc_co_u32_e32 v13, vcc, v11, v18, vcc
	v_xor_b32_e32 v20, v12, v18
	v_xor_b32_e32 v19, v13, v18
	v_mad_u64_u32 v[12:13], s[4:5], v20, v16, 0
	v_mul_hi_u32 v17, v20, v5
	v_add_co_u32_e32 v21, vcc, v17, v12
	v_addc_co_u32_e32 v22, vcc, 0, v13, vcc
	v_mad_u64_u32 v[12:13], s[4:5], v19, v16, 0
	v_mad_u64_u32 v[16:17], s[4:5], v19, v5, 0
	v_add_co_u32_e32 v5, vcc, v21, v16
	v_addc_co_u32_e32 v5, vcc, v22, v17, vcc
	v_addc_co_u32_e32 v13, vcc, 0, v13, vcc
	v_add_co_u32_e32 v5, vcc, v5, v12
	v_addc_co_u32_e32 v16, vcc, 0, v13, vcc
	v_mul_lo_u32 v17, s49, v5
	v_mul_lo_u32 v21, s48, v16
	v_mad_u64_u32 v[12:13], s[4:5], s48, v5, 0
	v_add3_u32 v13, v13, v21, v17
	v_sub_u32_e32 v17, v19, v13
	v_mov_b32_e32 v21, s49
	v_sub_co_u32_e32 v12, vcc, v20, v12
	v_subb_co_u32_e64 v17, s[4:5], v17, v21, vcc
	v_subrev_co_u32_e64 v20, s[4:5], s48, v12
	v_subbrev_co_u32_e64 v17, s[4:5], 0, v17, s[4:5]
	v_cmp_le_u32_e64 s[4:5], s49, v17
	v_cndmask_b32_e64 v21, 0, -1, s[4:5]
	v_cmp_le_u32_e64 s[4:5], s48, v20
	v_cndmask_b32_e64 v20, 0, -1, s[4:5]
	v_cmp_eq_u32_e64 s[4:5], s49, v17
	v_cndmask_b32_e64 v17, v21, v20, s[4:5]
	v_add_co_u32_e64 v20, s[4:5], 2, v5
	v_subb_co_u32_e32 v13, vcc, v19, v13, vcc
	v_addc_co_u32_e64 v21, s[4:5], 0, v16, s[4:5]
	v_cmp_le_u32_e32 vcc, s49, v13
	v_add_co_u32_e64 v22, s[4:5], 1, v5
	v_cndmask_b32_e64 v19, 0, -1, vcc
	v_cmp_le_u32_e32 vcc, s48, v12
	v_addc_co_u32_e64 v23, s[4:5], 0, v16, s[4:5]
	v_cndmask_b32_e64 v12, 0, -1, vcc
	v_cmp_eq_u32_e32 vcc, s49, v13
	v_cmp_ne_u32_e64 s[4:5], 0, v17
	v_cndmask_b32_e32 v12, v19, v12, vcc
	v_cmp_ne_u32_e32 vcc, 0, v12
	v_cndmask_b32_e64 v13, v22, v20, s[4:5]
	v_cndmask_b32_e64 v17, v23, v21, s[4:5]
	v_cndmask_b32_e32 v5, v5, v13, vcc
	v_xor_b32_e32 v13, s46, v18
	v_cndmask_b32_e32 v12, v16, v17, vcc
	v_xor_b32_e32 v5, v5, v13
	v_xor_b32_e32 v16, v12, v13
	v_sub_co_u32_e32 v12, vcc, v5, v13
	v_subb_co_u32_e32 v13, vcc, v16, v13, vcc
.LBB8_13:                               ;   in Loop: Header=BB8_11 Depth=2
	s_andn2_saveexec_b64 s[4:5], s[44:45]
	s_cbranch_execz .LBB8_15
; %bb.14:                               ;   in Loop: Header=BB8_11 Depth=2
	v_cvt_f32_u32_e32 v5, s42
	s_sub_i32 s38, 0, s42
	v_rcp_iflag_f32_e32 v5, v5
	v_mul_f32_e32 v5, 0x4f7ffffe, v5
	v_cvt_u32_f32_e32 v5, v5
	v_mul_lo_u32 v12, s38, v5
	v_mul_hi_u32 v12, v5, v12
	v_add_u32_e32 v5, v5, v12
	v_mul_hi_u32 v5, v10, v5
	v_mul_lo_u32 v12, v5, s42
	v_sub_u32_e32 v12, v10, v12
	v_add_u32_e32 v13, 1, v5
	v_subrev_u32_e32 v16, s42, v12
	v_cmp_le_u32_e32 vcc, s42, v12
	v_cndmask_b32_e32 v12, v12, v16, vcc
	v_cndmask_b32_e32 v5, v5, v13, vcc
	v_add_u32_e32 v13, 1, v5
	v_cmp_le_u32_e32 vcc, s42, v12
	v_cndmask_b32_e32 v12, v5, v13, vcc
	v_mov_b32_e32 v13, v4
.LBB8_15:                               ;   in Loop: Header=BB8_11 Depth=2
	s_or_b64 exec, exec, s[4:5]
	v_mad_u64_u32 v[16:17], s[4:5], v12, s42, 0
	s_load_dwordx2 s[4:5], s[40:41], 0xc8
	v_mul_lo_u32 v5, v13, s42
	v_mul_lo_u32 v18, v12, s43
	v_add3_u32 v5, v17, v18, v5
	v_sub_co_u32_e32 v10, vcc, v10, v16
	s_add_i32 s30, s30, -1
	v_subb_co_u32_e32 v5, vcc, v11, v5, vcc
	s_add_u32 s40, s40, -8
	s_waitcnt lgkmcnt(0)
	v_mul_lo_u32 v5, s4, v5
	v_mul_lo_u32 v11, s5, v10
	v_mad_u64_u32 v[8:9], s[4:5], s4, v10, v[8:9]
	s_addc_u32 s41, s41, -1
	s_cmp_gt_u32 s30, 2
	v_add3_u32 v9, v11, v9, v5
	s_cbranch_scc0 .LBB8_17
; %bb.16:                               ;   in Loop: Header=BB8_11 Depth=2
	v_pk_mov_b32 v[10:11], v[12:13], v[12:13] op_sel:[0,1]
	s_branch .LBB8_11
.LBB8_17:                               ;   in Loop: Header=BB8_10 Depth=1
	v_pk_mov_b32 v[10:11], s[28:29], s[28:29] op_sel:[0,1]
	v_mad_u64_u32 v[10:11], s[4:5], s26, v12, v[10:11]
	v_mul_lo_u32 v5, s26, v13
	v_mul_lo_u32 v12, s27, v12
	v_add3_u32 v5, v12, v11, v5
	v_add_co_u32_e32 v8, vcc, v10, v8
	v_addc_co_u32_e32 v9, vcc, v5, v9, vcc
	global_load_ubyte v5, v[8:9], off
	v_mov_b32_e32 v9, s31
	s_waitcnt vmcnt(0)
	v_and_b32_e32 v8, 0xffff, v5
	v_cmp_le_i64_e32 vcc, s[10:11], v[8:9]
	v_cmp_ge_i64_e64 s[4:5], s[12:13], v[8:9]
	s_and_b64 s[4:5], vcc, s[4:5]
	s_and_saveexec_b64 s[40:41], s[4:5]
	s_cbranch_execz .LBB8_9
; %bb.18:                               ;   in Loop: Header=BB8_10 Depth=1
	v_mov_b32_e32 v5, s11
	v_subrev_co_u32_e32 v8, vcc, s10, v8
	v_subb_co_u32_e32 v5, vcc, 0, v5, vcc
	v_mul_lo_u32 v5, v5, s8
	v_mul_lo_u32 v10, v8, s9
	v_mad_u64_u32 v[8:9], s[4:5], v8, s8, 0
	v_add3_u32 v9, v9, v10, v5
	v_or_b32_e32 v5, s50, v9
	v_cmp_ne_u64_e32 vcc, 0, v[4:5]
                                        ; implicit-def: $vgpr10_vgpr11
	s_and_saveexec_b64 s[4:5], vcc
	s_xor_b64 s[42:43], exec, s[4:5]
	s_cbranch_execz .LBB8_20
; %bb.19:                               ;   in Loop: Header=BB8_10 Depth=1
	s_ashr_i32 s44, s50, 31
	s_add_u32 s4, s33, s44
	s_mov_b32 s45, s44
	s_addc_u32 s5, s50, s44
	s_xor_b64 s[46:47], s[4:5], s[44:45]
	v_cvt_f32_u32_e32 v5, s46
	v_cvt_f32_u32_e32 v10, s47
	s_sub_u32 s4, 0, s46
	s_subb_u32 s5, 0, s47
	v_mac_f32_e32 v5, 0x4f800000, v10
	v_rcp_f32_e32 v5, v5
	v_mul_f32_e32 v5, 0x5f7ffffc, v5
	v_mul_f32_e32 v10, 0x2f800000, v5
	v_trunc_f32_e32 v10, v10
	v_mac_f32_e32 v5, 0xcf800000, v10
	v_cvt_u32_f32_e32 v10, v10
	v_cvt_u32_f32_e32 v5, v5
	v_mul_lo_u32 v11, s4, v10
	v_mul_hi_u32 v13, s4, v5
	v_mul_lo_u32 v12, s5, v5
	v_add_u32_e32 v11, v13, v11
	v_mul_lo_u32 v16, s4, v5
	v_add_u32_e32 v11, v11, v12
	v_mul_lo_u32 v13, v5, v11
	v_mul_hi_u32 v17, v5, v16
	v_mul_hi_u32 v12, v5, v11
	v_add_co_u32_e32 v13, vcc, v17, v13
	v_addc_co_u32_e32 v12, vcc, 0, v12, vcc
	v_mul_hi_u32 v18, v10, v16
	v_mul_lo_u32 v16, v10, v16
	v_add_co_u32_e32 v13, vcc, v13, v16
	v_mul_hi_u32 v17, v10, v11
	v_addc_co_u32_e32 v12, vcc, v12, v18, vcc
	v_addc_co_u32_e32 v13, vcc, 0, v17, vcc
	v_mul_lo_u32 v11, v10, v11
	v_add_co_u32_e32 v11, vcc, v12, v11
	v_addc_co_u32_e32 v12, vcc, 0, v13, vcc
	v_add_co_u32_e32 v5, vcc, v5, v11
	v_addc_co_u32_e32 v10, vcc, v10, v12, vcc
	v_mul_lo_u32 v11, s4, v10
	v_mul_hi_u32 v12, s4, v5
	v_add_u32_e32 v11, v12, v11
	v_mul_lo_u32 v12, s5, v5
	v_add_u32_e32 v11, v11, v12
	v_mul_lo_u32 v13, s4, v5
	v_mul_hi_u32 v16, v10, v13
	v_mul_lo_u32 v17, v10, v13
	v_mul_lo_u32 v19, v5, v11
	v_mul_hi_u32 v13, v5, v13
	v_mul_hi_u32 v18, v5, v11
	v_add_co_u32_e32 v13, vcc, v13, v19
	v_addc_co_u32_e32 v18, vcc, 0, v18, vcc
	v_add_co_u32_e32 v13, vcc, v13, v17
	v_mul_hi_u32 v12, v10, v11
	v_addc_co_u32_e32 v13, vcc, v18, v16, vcc
	v_addc_co_u32_e32 v12, vcc, 0, v12, vcc
	v_mul_lo_u32 v11, v10, v11
	v_add_co_u32_e32 v11, vcc, v13, v11
	v_addc_co_u32_e32 v12, vcc, 0, v12, vcc
	v_add_co_u32_e32 v5, vcc, v5, v11
	v_addc_co_u32_e32 v10, vcc, v10, v12, vcc
	v_ashrrev_i32_e32 v12, 31, v9
	v_add_co_u32_e32 v8, vcc, v8, v12
	v_addc_co_u32_e32 v9, vcc, v9, v12, vcc
	v_xor_b32_e32 v16, v8, v12
	v_xor_b32_e32 v13, v9, v12
	v_mad_u64_u32 v[8:9], s[4:5], v16, v10, 0
	v_mul_hi_u32 v11, v16, v5
	v_add_co_u32_e32 v17, vcc, v11, v8
	v_addc_co_u32_e32 v18, vcc, 0, v9, vcc
	v_mad_u64_u32 v[8:9], s[4:5], v13, v10, 0
	v_mad_u64_u32 v[10:11], s[4:5], v13, v5, 0
	v_add_co_u32_e32 v5, vcc, v17, v10
	v_addc_co_u32_e32 v5, vcc, v18, v11, vcc
	v_addc_co_u32_e32 v9, vcc, 0, v9, vcc
	v_add_co_u32_e32 v5, vcc, v5, v8
	v_addc_co_u32_e32 v8, vcc, 0, v9, vcc
	v_mul_lo_u32 v10, s47, v5
	v_mul_lo_u32 v11, s46, v8
	v_mad_u64_u32 v[8:9], s[4:5], s46, v5, 0
	v_add3_u32 v9, v9, v11, v10
	v_sub_u32_e32 v10, v13, v9
	v_mov_b32_e32 v11, s47
	v_sub_co_u32_e32 v8, vcc, v16, v8
	v_subb_co_u32_e64 v10, s[4:5], v10, v11, vcc
	v_subrev_co_u32_e64 v11, s[4:5], s46, v8
	v_subbrev_co_u32_e64 v10, s[4:5], 0, v10, s[4:5]
	v_cmp_le_u32_e64 s[4:5], s47, v10
	v_subb_co_u32_e32 v9, vcc, v13, v9, vcc
	v_cndmask_b32_e64 v16, 0, -1, s[4:5]
	v_cmp_le_u32_e64 s[4:5], s46, v11
	v_cmp_le_u32_e32 vcc, s47, v9
	v_cndmask_b32_e64 v11, 0, -1, s[4:5]
	v_cmp_eq_u32_e64 s[4:5], s47, v10
	v_cndmask_b32_e64 v13, 0, -1, vcc
	v_cmp_le_u32_e32 vcc, s46, v8
	v_cndmask_b32_e64 v10, v16, v11, s[4:5]
	v_cndmask_b32_e64 v8, 0, -1, vcc
	v_cmp_eq_u32_e32 vcc, s47, v9
	v_add_co_u32_e64 v11, s[4:5], 2, v5
	v_add_co_u32_e64 v16, s[4:5], 1, v5
	v_cndmask_b32_e32 v8, v13, v8, vcc
	v_cmp_ne_u32_e32 vcc, 0, v10
	v_cndmask_b32_e32 v9, v16, v11, vcc
	v_cmp_ne_u32_e32 vcc, 0, v8
	v_cndmask_b32_e32 v5, v5, v9, vcc
	v_xor_b32_e32 v8, s44, v12
	v_xor_b32_e32 v5, v5, v8
	v_sub_co_u32_e32 v10, vcc, v5, v8
                                        ; implicit-def: $vgpr8_vgpr9
.LBB8_20:                               ;   in Loop: Header=BB8_10 Depth=1
	s_andn2_saveexec_b64 s[4:5], s[42:43]
	s_cbranch_execz .LBB8_8
; %bb.21:                               ;   in Loop: Header=BB8_10 Depth=1
	v_cvt_f32_u32_e32 v5, s33
	s_sub_i32 s30, 0, s33
	v_rcp_iflag_f32_e32 v5, v5
	v_mul_f32_e32 v5, 0x4f7ffffe, v5
	v_cvt_u32_f32_e32 v5, v5
	v_mul_lo_u32 v9, s30, v5
	v_mul_hi_u32 v9, v5, v9
	v_add_u32_e32 v5, v5, v9
	v_mul_hi_u32 v5, v8, v5
	v_mul_lo_u32 v9, v5, s33
	v_sub_u32_e32 v8, v8, v9
	v_add_u32_e32 v10, 1, v5
	v_subrev_u32_e32 v9, s33, v8
	v_cmp_le_u32_e32 vcc, s33, v8
	v_cndmask_b32_e32 v8, v8, v9, vcc
	v_cndmask_b32_e32 v5, v5, v10, vcc
	v_add_u32_e32 v9, 1, v5
	v_cmp_le_u32_e32 vcc, s33, v8
	v_cndmask_b32_e32 v10, v5, v9, vcc
	s_branch .LBB8_8
.LBB8_22:
	s_or_b64 exec, exec, s[6:7]
; %bb.23:
	s_waitcnt lgkmcnt(0)
	s_barrier
	s_and_saveexec_b64 s[2:3], s[0:1]
	s_cbranch_execz .LBB8_26
; %bb.24:
	v_mad_u64_u32 v[4:5], s[0:1], s22, v0, 0
	v_mov_b32_e32 v6, v5
	v_and_b32_e32 v2, 0xffff, v7
	v_mad_u64_u32 v[6:7], s[0:1], s23, v0, v[6:7]
	v_mov_b32_e32 v5, v6
	v_mad_u64_u32 v[6:7], s[0:1], s22, v2, 0
	v_mov_b32_e32 v8, v7
	v_lshlrev_b64 v[4:5], 3, v[4:5]
	v_mad_u64_u32 v[8:9], s[0:1], s23, v2, v[8:9]
	v_mov_b32_e32 v3, s17
	v_add_co_u32_e32 v4, vcc, s16, v4
	v_mov_b32_e32 v7, v8
	v_addc_co_u32_e32 v5, vcc, v3, v5, vcc
	v_lshlrev_b64 v[6:7], 3, v[6:7]
	v_lshlrev_b32_e32 v3, 3, v15
	s_mov_b64 s[0:1], 0
.LBB8_25:                               ; =>This Inner Loop Header: Depth=1
	ds_read_b64 v[8:9], v14
	v_add_co_u32_e32 v0, vcc, v0, v2
	v_addc_co_u32_e32 v1, vcc, 0, v1, vcc
	s_waitcnt lgkmcnt(0)
	global_atomic_add_f64 v[4:5], v[8:9], off
	v_cmp_le_i64_e32 vcc, s[18:19], v[0:1]
	s_or_b64 s[0:1], vcc, s[0:1]
	v_add_co_u32_e32 v4, vcc, v4, v6
	v_add_u32_e32 v14, v14, v3
	v_addc_co_u32_e32 v5, vcc, v5, v7, vcc
	s_andn2_b64 exec, exec, s[0:1]
	s_cbranch_execnz .LBB8_25
.LBB8_26:
	s_endpgm
	.section	.rodata,"a",@progbits
	.p2align	6, 0x0
	.amdhsa_kernel _ZN2at4cuda17kernelHistogram1DIdhlLi1ELi2ELin1ELNS0_23CUDAHistogramMemoryTypeE0EZNS0_21CUDA_tensor_histogramIdhLb1EEEbNS_6TensorES4_S4_lNS_14AccumulateTypeIT0_Lb1EE4typeES8_NS0_13TensorArgTypeES9_S9_EUllE_EEvNS0_6detail10TensorInfoIT_T1_EESF_NSC_IKS6_SE_EElS8_S8_SE_T6_
		.amdhsa_group_segment_fixed_size 0
		.amdhsa_private_segment_fixed_size 0
		.amdhsa_kernarg_size 1952
		.amdhsa_user_sgpr_count 6
		.amdhsa_user_sgpr_private_segment_buffer 1
		.amdhsa_user_sgpr_dispatch_ptr 0
		.amdhsa_user_sgpr_queue_ptr 0
		.amdhsa_user_sgpr_kernarg_segment_ptr 1
		.amdhsa_user_sgpr_dispatch_id 0
		.amdhsa_user_sgpr_flat_scratch_init 0
		.amdhsa_user_sgpr_kernarg_preload_length 0
		.amdhsa_user_sgpr_kernarg_preload_offset 0
		.amdhsa_user_sgpr_private_segment_size 0
		.amdhsa_uses_dynamic_stack 0
		.amdhsa_system_sgpr_private_segment_wavefront_offset 0
		.amdhsa_system_sgpr_workgroup_id_x 1
		.amdhsa_system_sgpr_workgroup_id_y 0
		.amdhsa_system_sgpr_workgroup_id_z 0
		.amdhsa_system_sgpr_workgroup_info 0
		.amdhsa_system_vgpr_workitem_id 0
		.amdhsa_next_free_vgpr 24
		.amdhsa_next_free_sgpr 52
		.amdhsa_accum_offset 24
		.amdhsa_reserve_vcc 1
		.amdhsa_reserve_flat_scratch 0
		.amdhsa_float_round_mode_32 0
		.amdhsa_float_round_mode_16_64 0
		.amdhsa_float_denorm_mode_32 3
		.amdhsa_float_denorm_mode_16_64 3
		.amdhsa_dx10_clamp 1
		.amdhsa_ieee_mode 1
		.amdhsa_fp16_overflow 0
		.amdhsa_tg_split 0
		.amdhsa_exception_fp_ieee_invalid_op 0
		.amdhsa_exception_fp_denorm_src 0
		.amdhsa_exception_fp_ieee_div_zero 0
		.amdhsa_exception_fp_ieee_overflow 0
		.amdhsa_exception_fp_ieee_underflow 0
		.amdhsa_exception_fp_ieee_inexact 0
		.amdhsa_exception_int_div_zero 0
	.end_amdhsa_kernel
	.section	.text._ZN2at4cuda17kernelHistogram1DIdhlLi1ELi2ELin1ELNS0_23CUDAHistogramMemoryTypeE0EZNS0_21CUDA_tensor_histogramIdhLb1EEEbNS_6TensorES4_S4_lNS_14AccumulateTypeIT0_Lb1EE4typeES8_NS0_13TensorArgTypeES9_S9_EUllE_EEvNS0_6detail10TensorInfoIT_T1_EESF_NSC_IKS6_SE_EElS8_S8_SE_T6_,"axG",@progbits,_ZN2at4cuda17kernelHistogram1DIdhlLi1ELi2ELin1ELNS0_23CUDAHistogramMemoryTypeE0EZNS0_21CUDA_tensor_histogramIdhLb1EEEbNS_6TensorES4_S4_lNS_14AccumulateTypeIT0_Lb1EE4typeES8_NS0_13TensorArgTypeES9_S9_EUllE_EEvNS0_6detail10TensorInfoIT_T1_EESF_NSC_IKS6_SE_EElS8_S8_SE_T6_,comdat
.Lfunc_end8:
	.size	_ZN2at4cuda17kernelHistogram1DIdhlLi1ELi2ELin1ELNS0_23CUDAHistogramMemoryTypeE0EZNS0_21CUDA_tensor_histogramIdhLb1EEEbNS_6TensorES4_S4_lNS_14AccumulateTypeIT0_Lb1EE4typeES8_NS0_13TensorArgTypeES9_S9_EUllE_EEvNS0_6detail10TensorInfoIT_T1_EESF_NSC_IKS6_SE_EElS8_S8_SE_T6_, .Lfunc_end8-_ZN2at4cuda17kernelHistogram1DIdhlLi1ELi2ELin1ELNS0_23CUDAHistogramMemoryTypeE0EZNS0_21CUDA_tensor_histogramIdhLb1EEEbNS_6TensorES4_S4_lNS_14AccumulateTypeIT0_Lb1EE4typeES8_NS0_13TensorArgTypeES9_S9_EUllE_EEvNS0_6detail10TensorInfoIT_T1_EESF_NSC_IKS6_SE_EElS8_S8_SE_T6_
                                        ; -- End function
	.section	.AMDGPU.csdata,"",@progbits
; Kernel info:
; codeLenInByte = 2572
; NumSgprs: 56
; NumVgprs: 24
; NumAgprs: 0
; TotalNumVgprs: 24
; ScratchSize: 0
; MemoryBound: 0
; FloatMode: 240
; IeeeMode: 1
; LDSByteSize: 0 bytes/workgroup (compile time only)
; SGPRBlocks: 6
; VGPRBlocks: 2
; NumSGPRsForWavesPerEU: 56
; NumVGPRsForWavesPerEU: 24
; AccumOffset: 24
; Occupancy: 8
; WaveLimiterHint : 1
; COMPUTE_PGM_RSRC2:SCRATCH_EN: 0
; COMPUTE_PGM_RSRC2:USER_SGPR: 6
; COMPUTE_PGM_RSRC2:TRAP_HANDLER: 0
; COMPUTE_PGM_RSRC2:TGID_X_EN: 1
; COMPUTE_PGM_RSRC2:TGID_Y_EN: 0
; COMPUTE_PGM_RSRC2:TGID_Z_EN: 0
; COMPUTE_PGM_RSRC2:TIDIG_COMP_CNT: 0
; COMPUTE_PGM_RSRC3_GFX90A:ACCUM_OFFSET: 5
; COMPUTE_PGM_RSRC3_GFX90A:TG_SPLIT: 0
	.section	.text._ZN2at4cuda17kernelHistogram1DIdhlLi1ELi2ELin1ELNS0_23CUDAHistogramMemoryTypeE1EZNS0_21CUDA_tensor_histogramIdhLb1EEEbNS_6TensorES4_S4_lNS_14AccumulateTypeIT0_Lb1EE4typeES8_NS0_13TensorArgTypeES9_S9_EUllE_EEvNS0_6detail10TensorInfoIT_T1_EESF_NSC_IKS6_SE_EElS8_S8_SE_T6_,"axG",@progbits,_ZN2at4cuda17kernelHistogram1DIdhlLi1ELi2ELin1ELNS0_23CUDAHistogramMemoryTypeE1EZNS0_21CUDA_tensor_histogramIdhLb1EEEbNS_6TensorES4_S4_lNS_14AccumulateTypeIT0_Lb1EE4typeES8_NS0_13TensorArgTypeES9_S9_EUllE_EEvNS0_6detail10TensorInfoIT_T1_EESF_NSC_IKS6_SE_EElS8_S8_SE_T6_,comdat
	.protected	_ZN2at4cuda17kernelHistogram1DIdhlLi1ELi2ELin1ELNS0_23CUDAHistogramMemoryTypeE1EZNS0_21CUDA_tensor_histogramIdhLb1EEEbNS_6TensorES4_S4_lNS_14AccumulateTypeIT0_Lb1EE4typeES8_NS0_13TensorArgTypeES9_S9_EUllE_EEvNS0_6detail10TensorInfoIT_T1_EESF_NSC_IKS6_SE_EElS8_S8_SE_T6_ ; -- Begin function _ZN2at4cuda17kernelHistogram1DIdhlLi1ELi2ELin1ELNS0_23CUDAHistogramMemoryTypeE1EZNS0_21CUDA_tensor_histogramIdhLb1EEEbNS_6TensorES4_S4_lNS_14AccumulateTypeIT0_Lb1EE4typeES8_NS0_13TensorArgTypeES9_S9_EUllE_EEvNS0_6detail10TensorInfoIT_T1_EESF_NSC_IKS6_SE_EElS8_S8_SE_T6_
	.globl	_ZN2at4cuda17kernelHistogram1DIdhlLi1ELi2ELin1ELNS0_23CUDAHistogramMemoryTypeE1EZNS0_21CUDA_tensor_histogramIdhLb1EEEbNS_6TensorES4_S4_lNS_14AccumulateTypeIT0_Lb1EE4typeES8_NS0_13TensorArgTypeES9_S9_EUllE_EEvNS0_6detail10TensorInfoIT_T1_EESF_NSC_IKS6_SE_EElS8_S8_SE_T6_
	.p2align	8
	.type	_ZN2at4cuda17kernelHistogram1DIdhlLi1ELi2ELin1ELNS0_23CUDAHistogramMemoryTypeE1EZNS0_21CUDA_tensor_histogramIdhLb1EEEbNS_6TensorES4_S4_lNS_14AccumulateTypeIT0_Lb1EE4typeES8_NS0_13TensorArgTypeES9_S9_EUllE_EEvNS0_6detail10TensorInfoIT_T1_EESF_NSC_IKS6_SE_EElS8_S8_SE_T6_,@function
_ZN2at4cuda17kernelHistogram1DIdhlLi1ELi2ELin1ELNS0_23CUDAHistogramMemoryTypeE1EZNS0_21CUDA_tensor_histogramIdhLb1EEEbNS_6TensorES4_S4_lNS_14AccumulateTypeIT0_Lb1EE4typeES8_NS0_13TensorArgTypeES9_S9_EUllE_EEvNS0_6detail10TensorInfoIT_T1_EESF_NSC_IKS6_SE_EElS8_S8_SE_T6_: ; @_ZN2at4cuda17kernelHistogram1DIdhlLi1ELi2ELin1ELNS0_23CUDAHistogramMemoryTypeE1EZNS0_21CUDA_tensor_histogramIdhLb1EEEbNS_6TensorES4_S4_lNS_14AccumulateTypeIT0_Lb1EE4typeES8_NS0_13TensorArgTypeES9_S9_EUllE_EEvNS0_6detail10TensorInfoIT_T1_EESF_NSC_IKS6_SE_EElS8_S8_SE_T6_
; %bb.0:
	s_load_dword s2, s[4:5], 0x6ac
	s_load_dwordx8 s[8:15], s[4:5], 0x4e0
	s_add_u32 s0, s4, 0x6a0
	s_addc_u32 s1, s5, 0
	v_mov_b32_e32 v2, 0
	s_waitcnt lgkmcnt(0)
	s_and_b32 s2, s2, 0xffff
	s_mul_i32 s6, s6, s2
	v_add_u32_e32 v0, s6, v0
	v_mov_b32_e32 v1, v2
	v_cmp_gt_i64_e32 vcc, s[14:15], v[0:1]
	s_and_saveexec_b64 s[6:7], vcc
	s_cbranch_execz .LBB9_16
; %bb.1:
	s_load_dwordx2 s[6:7], s[4:5], 0x5d0
	s_load_dwordx2 s[16:17], s[4:5], 0x500
	s_load_dword s3, s[4:5], 0x4d8
	s_load_dwordx2 s[18:19], s[4:5], 0x0
	s_load_dwordx2 s[20:21], s[4:5], 0xd0
	s_load_dword s28, s[0:1], 0x0
	s_add_u32 s26, s4, 0x340
	s_addc_u32 s27, s5, 0
	s_mov_b32 s42, 0
	s_waitcnt lgkmcnt(0)
	s_cmp_gt_i32 s3, 1
	s_cselect_b64 s[0:1], -1, 0
	s_sub_u32 s33, s12, s10
	s_subb_u32 s40, s13, s11
	s_mul_i32 s41, s28, s2
	s_add_i32 s43, s3, 1
	s_add_i32 s2, s3, -1
	s_mov_b32 s3, s42
	s_load_dwordx2 s[22:23], s[4:5], 0x410
	s_load_dwordx2 s[24:25], s[4:5], 0x340
	s_lshl_b64 s[2:3], s[2:3], 3
	s_add_u32 s2, s2, s26
	s_addc_u32 s3, s3, s27
	s_add_u32 s4, s2, 8
	v_cndmask_b32_e64 v3, 0, 1, s[0:1]
	s_addc_u32 s5, s3, 0
	s_mov_b64 s[26:27], 0
	v_cmp_ne_u32_e64 s[0:1], 1, v3
	s_branch .LBB9_4
.LBB9_2:                                ;   in Loop: Header=BB9_4 Depth=1
	s_or_b64 exec, exec, s[2:3]
	v_mul_lo_u32 v3, v1, s6
	v_mul_lo_u32 v7, v0, s7
	v_mad_u64_u32 v[4:5], s[2:3], v0, s6, 0
	v_add3_u32 v5, v5, v7, v3
	v_lshlrev_b64 v[4:5], 3, v[4:5]
	v_mov_b32_e32 v3, s17
	v_add_co_u32_e32 v4, vcc, s16, v4
	v_addc_co_u32_e32 v5, vcc, v3, v5, vcc
	global_load_dwordx2 v[4:5], v[4:5], off
	v_ashrrev_i32_e32 v7, 31, v6
	v_cmp_eq_u64_e32 vcc, s[8:9], v[6:7]
	v_cndmask_b32_e64 v3, 0, 1, vcc
	v_sub_co_u32_e32 v3, vcc, v6, v3
	v_subbrev_co_u32_e32 v6, vcc, 0, v7, vcc
	v_mul_lo_u32 v8, v6, s20
	v_mul_lo_u32 v9, v3, s21
	v_mad_u64_u32 v[6:7], s[2:3], v3, s20, 0
	v_add3_u32 v7, v7, v9, v8
	v_lshlrev_b64 v[6:7], 3, v[6:7]
	v_mov_b32_e32 v3, s19
	v_add_co_u32_e32 v6, vcc, s18, v6
	v_addc_co_u32_e32 v7, vcc, v3, v7, vcc
	s_waitcnt vmcnt(0)
	global_atomic_add_f64 v[6:7], v[4:5], off
.LBB9_3:                                ;   in Loop: Header=BB9_4 Depth=1
	s_or_b64 exec, exec, s[28:29]
	v_mov_b32_e32 v3, s42
	v_add_co_u32_e32 v0, vcc, s41, v0
	v_addc_co_u32_e32 v1, vcc, v1, v3, vcc
	v_cmp_le_i64_e32 vcc, s[14:15], v[0:1]
	s_or_b64 s[26:27], vcc, s[26:27]
	s_andn2_b64 exec, exec, s[26:27]
	s_cbranch_execz .LBB9_16
.LBB9_4:                                ; =>This Loop Header: Depth=1
                                        ;     Child Loop BB9_5 Depth 2
	s_and_b64 vcc, exec, s[0:1]
	v_pk_mov_b32 v[4:5], 0, 0
	s_mov_b64 s[28:29], s[4:5]
	s_mov_b32 s44, s43
	v_pk_mov_b32 v[6:7], v[0:1], v[0:1] op_sel:[0,1]
	v_pk_mov_b32 v[8:9], v[0:1], v[0:1] op_sel:[0,1]
	s_cbranch_vccnz .LBB9_11
.LBB9_5:                                ;   Parent Loop BB9_4 Depth=1
                                        ; =>  This Inner Loop Header: Depth=2
	s_load_dwordx2 s[30:31], s[28:29], 0x0
                                        ; implicit-def: $vgpr8_vgpr9
	s_waitcnt lgkmcnt(0)
	v_or_b32_e32 v3, s31, v7
	v_cmp_ne_u64_e32 vcc, 0, v[2:3]
	s_and_saveexec_b64 s[2:3], vcc
	s_xor_b64 s[34:35], exec, s[2:3]
	s_cbranch_execz .LBB9_7
; %bb.6:                                ;   in Loop: Header=BB9_5 Depth=2
	s_ashr_i32 s36, s31, 31
	s_add_u32 s2, s30, s36
	s_mov_b32 s37, s36
	s_addc_u32 s3, s31, s36
	s_xor_b64 s[38:39], s[2:3], s[36:37]
	v_cvt_f32_u32_e32 v3, s38
	v_cvt_f32_u32_e32 v8, s39
	s_sub_u32 s2, 0, s38
	s_subb_u32 s3, 0, s39
	v_mac_f32_e32 v3, 0x4f800000, v8
	v_rcp_f32_e32 v3, v3
	v_mul_f32_e32 v3, 0x5f7ffffc, v3
	v_mul_f32_e32 v8, 0x2f800000, v3
	v_trunc_f32_e32 v8, v8
	v_mac_f32_e32 v3, 0xcf800000, v8
	v_cvt_u32_f32_e32 v8, v8
	v_cvt_u32_f32_e32 v3, v3
	v_mul_lo_u32 v9, s2, v8
	v_mul_hi_u32 v11, s2, v3
	v_mul_lo_u32 v10, s3, v3
	v_add_u32_e32 v9, v11, v9
	v_mul_lo_u32 v12, s2, v3
	v_add_u32_e32 v9, v9, v10
	v_mul_lo_u32 v11, v3, v9
	v_mul_hi_u32 v13, v3, v12
	v_mul_hi_u32 v10, v3, v9
	v_add_co_u32_e32 v11, vcc, v13, v11
	v_addc_co_u32_e32 v10, vcc, 0, v10, vcc
	v_mul_hi_u32 v14, v8, v12
	v_mul_lo_u32 v12, v8, v12
	v_add_co_u32_e32 v11, vcc, v11, v12
	v_mul_hi_u32 v13, v8, v9
	v_addc_co_u32_e32 v10, vcc, v10, v14, vcc
	v_addc_co_u32_e32 v11, vcc, 0, v13, vcc
	v_mul_lo_u32 v9, v8, v9
	v_add_co_u32_e32 v9, vcc, v10, v9
	v_addc_co_u32_e32 v10, vcc, 0, v11, vcc
	v_add_co_u32_e32 v3, vcc, v3, v9
	v_addc_co_u32_e32 v8, vcc, v8, v10, vcc
	v_mul_lo_u32 v9, s2, v8
	v_mul_hi_u32 v10, s2, v3
	v_add_u32_e32 v9, v10, v9
	v_mul_lo_u32 v10, s3, v3
	v_add_u32_e32 v9, v9, v10
	v_mul_lo_u32 v11, s2, v3
	v_mul_hi_u32 v12, v8, v11
	v_mul_lo_u32 v13, v8, v11
	v_mul_lo_u32 v15, v3, v9
	v_mul_hi_u32 v11, v3, v11
	v_mul_hi_u32 v14, v3, v9
	v_add_co_u32_e32 v11, vcc, v11, v15
	v_addc_co_u32_e32 v14, vcc, 0, v14, vcc
	v_add_co_u32_e32 v11, vcc, v11, v13
	v_mul_hi_u32 v10, v8, v9
	v_addc_co_u32_e32 v11, vcc, v14, v12, vcc
	v_addc_co_u32_e32 v10, vcc, 0, v10, vcc
	v_mul_lo_u32 v9, v8, v9
	v_add_co_u32_e32 v9, vcc, v11, v9
	v_addc_co_u32_e32 v10, vcc, 0, v10, vcc
	v_add_co_u32_e32 v3, vcc, v3, v9
	v_addc_co_u32_e32 v10, vcc, v8, v10, vcc
	v_ashrrev_i32_e32 v12, 31, v7
	v_add_co_u32_e32 v8, vcc, v6, v12
	v_addc_co_u32_e32 v9, vcc, v7, v12, vcc
	v_xor_b32_e32 v14, v8, v12
	v_xor_b32_e32 v13, v9, v12
	v_mad_u64_u32 v[8:9], s[2:3], v14, v10, 0
	v_mul_hi_u32 v11, v14, v3
	v_add_co_u32_e32 v15, vcc, v11, v8
	v_addc_co_u32_e32 v16, vcc, 0, v9, vcc
	v_mad_u64_u32 v[8:9], s[2:3], v13, v10, 0
	v_mad_u64_u32 v[10:11], s[2:3], v13, v3, 0
	v_add_co_u32_e32 v3, vcc, v15, v10
	v_addc_co_u32_e32 v3, vcc, v16, v11, vcc
	v_addc_co_u32_e32 v9, vcc, 0, v9, vcc
	v_add_co_u32_e32 v3, vcc, v3, v8
	v_addc_co_u32_e32 v10, vcc, 0, v9, vcc
	v_mul_lo_u32 v11, s39, v3
	v_mul_lo_u32 v15, s38, v10
	v_mad_u64_u32 v[8:9], s[2:3], s38, v3, 0
	v_add3_u32 v9, v9, v15, v11
	v_sub_u32_e32 v11, v13, v9
	v_mov_b32_e32 v15, s39
	v_sub_co_u32_e32 v8, vcc, v14, v8
	v_subb_co_u32_e64 v11, s[2:3], v11, v15, vcc
	v_subrev_co_u32_e64 v14, s[2:3], s38, v8
	v_subbrev_co_u32_e64 v11, s[2:3], 0, v11, s[2:3]
	v_cmp_le_u32_e64 s[2:3], s39, v11
	v_cndmask_b32_e64 v15, 0, -1, s[2:3]
	v_cmp_le_u32_e64 s[2:3], s38, v14
	v_cndmask_b32_e64 v14, 0, -1, s[2:3]
	v_cmp_eq_u32_e64 s[2:3], s39, v11
	v_cndmask_b32_e64 v11, v15, v14, s[2:3]
	v_add_co_u32_e64 v14, s[2:3], 2, v3
	v_subb_co_u32_e32 v9, vcc, v13, v9, vcc
	v_addc_co_u32_e64 v15, s[2:3], 0, v10, s[2:3]
	v_cmp_le_u32_e32 vcc, s39, v9
	v_add_co_u32_e64 v16, s[2:3], 1, v3
	v_cndmask_b32_e64 v13, 0, -1, vcc
	v_cmp_le_u32_e32 vcc, s38, v8
	v_addc_co_u32_e64 v17, s[2:3], 0, v10, s[2:3]
	v_cndmask_b32_e64 v8, 0, -1, vcc
	v_cmp_eq_u32_e32 vcc, s39, v9
	v_cmp_ne_u32_e64 s[2:3], 0, v11
	v_cndmask_b32_e32 v8, v13, v8, vcc
	v_cmp_ne_u32_e32 vcc, 0, v8
	v_cndmask_b32_e64 v9, v16, v14, s[2:3]
	v_cndmask_b32_e64 v11, v17, v15, s[2:3]
	v_cndmask_b32_e32 v3, v3, v9, vcc
	v_xor_b32_e32 v9, s36, v12
	v_cndmask_b32_e32 v8, v10, v11, vcc
	v_xor_b32_e32 v3, v3, v9
	v_xor_b32_e32 v10, v8, v9
	v_sub_co_u32_e32 v8, vcc, v3, v9
	v_subb_co_u32_e32 v9, vcc, v10, v9, vcc
.LBB9_7:                                ;   in Loop: Header=BB9_5 Depth=2
	s_andn2_saveexec_b64 s[2:3], s[34:35]
	s_cbranch_execz .LBB9_9
; %bb.8:                                ;   in Loop: Header=BB9_5 Depth=2
	v_cvt_f32_u32_e32 v3, s30
	s_sub_i32 s34, 0, s30
	v_rcp_iflag_f32_e32 v3, v3
	v_mul_f32_e32 v3, 0x4f7ffffe, v3
	v_cvt_u32_f32_e32 v3, v3
	v_mul_lo_u32 v8, s34, v3
	v_mul_hi_u32 v8, v3, v8
	v_add_u32_e32 v3, v3, v8
	v_mul_hi_u32 v3, v6, v3
	v_mul_lo_u32 v8, v3, s30
	v_sub_u32_e32 v8, v6, v8
	v_add_u32_e32 v9, 1, v3
	v_subrev_u32_e32 v10, s30, v8
	v_cmp_le_u32_e32 vcc, s30, v8
	v_cndmask_b32_e32 v8, v8, v10, vcc
	v_cndmask_b32_e32 v3, v3, v9, vcc
	v_add_u32_e32 v9, 1, v3
	v_cmp_le_u32_e32 vcc, s30, v8
	v_cndmask_b32_e32 v8, v3, v9, vcc
	v_mov_b32_e32 v9, v2
.LBB9_9:                                ;   in Loop: Header=BB9_5 Depth=2
	s_or_b64 exec, exec, s[2:3]
	v_mad_u64_u32 v[10:11], s[2:3], v8, s30, 0
	s_load_dwordx2 s[2:3], s[28:29], 0xc8
	v_mul_lo_u32 v3, v9, s30
	v_mul_lo_u32 v12, v8, s31
	v_add3_u32 v3, v11, v12, v3
	v_sub_co_u32_e32 v6, vcc, v6, v10
	s_add_i32 s44, s44, -1
	v_subb_co_u32_e32 v3, vcc, v7, v3, vcc
	s_add_u32 s28, s28, -8
	s_waitcnt lgkmcnt(0)
	v_mul_lo_u32 v3, s2, v3
	v_mul_lo_u32 v7, s3, v6
	v_mad_u64_u32 v[4:5], s[2:3], s2, v6, v[4:5]
	s_addc_u32 s29, s29, -1
	s_cmp_gt_u32 s44, 2
	v_add3_u32 v5, v7, v5, v3
	s_cbranch_scc0 .LBB9_11
; %bb.10:                               ;   in Loop: Header=BB9_5 Depth=2
	v_pk_mov_b32 v[6:7], v[8:9], v[8:9] op_sel:[0,1]
	s_branch .LBB9_5
.LBB9_11:                               ;   in Loop: Header=BB9_4 Depth=1
	s_waitcnt lgkmcnt(0)
	v_pk_mov_b32 v[6:7], s[24:25], s[24:25] op_sel:[0,1]
	v_mad_u64_u32 v[6:7], s[2:3], s22, v8, v[6:7]
	v_mul_lo_u32 v3, s22, v9
	v_mul_lo_u32 v8, s23, v8
	v_add3_u32 v3, v8, v7, v3
	v_add_co_u32_e32 v4, vcc, v6, v4
	v_addc_co_u32_e32 v5, vcc, v3, v5, vcc
	global_load_ubyte v3, v[4:5], off
	v_mov_b32_e32 v5, s42
	s_waitcnt vmcnt(0)
	v_and_b32_e32 v4, 0xffff, v3
	v_cmp_le_i64_e32 vcc, s[10:11], v[4:5]
	v_cmp_ge_i64_e64 s[2:3], s[12:13], v[4:5]
	s_and_b64 s[2:3], vcc, s[2:3]
	s_and_saveexec_b64 s[28:29], s[2:3]
	s_cbranch_execz .LBB9_3
; %bb.12:                               ;   in Loop: Header=BB9_4 Depth=1
	v_mov_b32_e32 v3, s11
	v_subrev_co_u32_e32 v4, vcc, s10, v4
	v_subb_co_u32_e32 v3, vcc, 0, v3, vcc
	v_mul_lo_u32 v3, v3, s8
	v_mul_lo_u32 v6, v4, s9
	v_mad_u64_u32 v[4:5], s[2:3], v4, s8, 0
	v_add3_u32 v5, v5, v6, v3
	v_or_b32_e32 v3, s40, v5
	v_cmp_ne_u64_e32 vcc, 0, v[2:3]
                                        ; implicit-def: $vgpr6_vgpr7
	s_and_saveexec_b64 s[2:3], vcc
	s_xor_b64 s[30:31], exec, s[2:3]
	s_cbranch_execz .LBB9_14
; %bb.13:                               ;   in Loop: Header=BB9_4 Depth=1
	s_ashr_i32 s34, s40, 31
	s_add_u32 s2, s33, s34
	s_mov_b32 s35, s34
	s_addc_u32 s3, s40, s34
	s_xor_b64 s[36:37], s[2:3], s[34:35]
	v_cvt_f32_u32_e32 v3, s36
	v_cvt_f32_u32_e32 v6, s37
	s_sub_u32 s2, 0, s36
	s_subb_u32 s3, 0, s37
	v_mac_f32_e32 v3, 0x4f800000, v6
	v_rcp_f32_e32 v3, v3
	v_mul_f32_e32 v3, 0x5f7ffffc, v3
	v_mul_f32_e32 v6, 0x2f800000, v3
	v_trunc_f32_e32 v6, v6
	v_mac_f32_e32 v3, 0xcf800000, v6
	v_cvt_u32_f32_e32 v6, v6
	v_cvt_u32_f32_e32 v3, v3
	v_mul_lo_u32 v7, s2, v6
	v_mul_hi_u32 v9, s2, v3
	v_mul_lo_u32 v8, s3, v3
	v_add_u32_e32 v7, v9, v7
	v_mul_lo_u32 v10, s2, v3
	v_add_u32_e32 v7, v7, v8
	v_mul_lo_u32 v9, v3, v7
	v_mul_hi_u32 v11, v3, v10
	v_mul_hi_u32 v8, v3, v7
	v_add_co_u32_e32 v9, vcc, v11, v9
	v_addc_co_u32_e32 v8, vcc, 0, v8, vcc
	v_mul_hi_u32 v12, v6, v10
	v_mul_lo_u32 v10, v6, v10
	v_add_co_u32_e32 v9, vcc, v9, v10
	v_mul_hi_u32 v11, v6, v7
	v_addc_co_u32_e32 v8, vcc, v8, v12, vcc
	v_addc_co_u32_e32 v9, vcc, 0, v11, vcc
	v_mul_lo_u32 v7, v6, v7
	v_add_co_u32_e32 v7, vcc, v8, v7
	v_addc_co_u32_e32 v8, vcc, 0, v9, vcc
	v_add_co_u32_e32 v3, vcc, v3, v7
	v_addc_co_u32_e32 v6, vcc, v6, v8, vcc
	v_mul_lo_u32 v7, s2, v6
	v_mul_hi_u32 v8, s2, v3
	v_add_u32_e32 v7, v8, v7
	v_mul_lo_u32 v8, s3, v3
	v_add_u32_e32 v7, v7, v8
	v_mul_lo_u32 v9, s2, v3
	v_mul_hi_u32 v10, v6, v9
	v_mul_lo_u32 v11, v6, v9
	v_mul_lo_u32 v13, v3, v7
	v_mul_hi_u32 v9, v3, v9
	v_mul_hi_u32 v12, v3, v7
	v_add_co_u32_e32 v9, vcc, v9, v13
	v_addc_co_u32_e32 v12, vcc, 0, v12, vcc
	v_add_co_u32_e32 v9, vcc, v9, v11
	v_mul_hi_u32 v8, v6, v7
	v_addc_co_u32_e32 v9, vcc, v12, v10, vcc
	v_addc_co_u32_e32 v8, vcc, 0, v8, vcc
	v_mul_lo_u32 v7, v6, v7
	v_add_co_u32_e32 v7, vcc, v9, v7
	v_addc_co_u32_e32 v8, vcc, 0, v8, vcc
	v_add_co_u32_e32 v3, vcc, v3, v7
	v_addc_co_u32_e32 v6, vcc, v6, v8, vcc
	v_ashrrev_i32_e32 v8, 31, v5
	v_add_co_u32_e32 v4, vcc, v4, v8
	v_addc_co_u32_e32 v5, vcc, v5, v8, vcc
	v_xor_b32_e32 v10, v4, v8
	v_xor_b32_e32 v9, v5, v8
	v_mad_u64_u32 v[4:5], s[2:3], v10, v6, 0
	v_mul_hi_u32 v7, v10, v3
	v_add_co_u32_e32 v11, vcc, v7, v4
	v_addc_co_u32_e32 v12, vcc, 0, v5, vcc
	v_mad_u64_u32 v[4:5], s[2:3], v9, v6, 0
	v_mad_u64_u32 v[6:7], s[2:3], v9, v3, 0
	v_add_co_u32_e32 v3, vcc, v11, v6
	v_addc_co_u32_e32 v3, vcc, v12, v7, vcc
	v_addc_co_u32_e32 v5, vcc, 0, v5, vcc
	v_add_co_u32_e32 v3, vcc, v3, v4
	v_addc_co_u32_e32 v4, vcc, 0, v5, vcc
	v_mul_lo_u32 v6, s37, v3
	v_mul_lo_u32 v7, s36, v4
	v_mad_u64_u32 v[4:5], s[2:3], s36, v3, 0
	v_add3_u32 v5, v5, v7, v6
	v_sub_u32_e32 v6, v9, v5
	v_mov_b32_e32 v7, s37
	v_sub_co_u32_e32 v4, vcc, v10, v4
	v_subb_co_u32_e64 v6, s[2:3], v6, v7, vcc
	v_subrev_co_u32_e64 v7, s[2:3], s36, v4
	v_subbrev_co_u32_e64 v6, s[2:3], 0, v6, s[2:3]
	v_cmp_le_u32_e64 s[2:3], s37, v6
	v_subb_co_u32_e32 v5, vcc, v9, v5, vcc
	v_cndmask_b32_e64 v10, 0, -1, s[2:3]
	v_cmp_le_u32_e64 s[2:3], s36, v7
	v_cmp_le_u32_e32 vcc, s37, v5
	v_cndmask_b32_e64 v7, 0, -1, s[2:3]
	v_cmp_eq_u32_e64 s[2:3], s37, v6
	v_cndmask_b32_e64 v9, 0, -1, vcc
	v_cmp_le_u32_e32 vcc, s36, v4
	v_cndmask_b32_e64 v6, v10, v7, s[2:3]
	v_cndmask_b32_e64 v4, 0, -1, vcc
	v_cmp_eq_u32_e32 vcc, s37, v5
	v_add_co_u32_e64 v7, s[2:3], 2, v3
	v_add_co_u32_e64 v10, s[2:3], 1, v3
	v_cndmask_b32_e32 v4, v9, v4, vcc
	v_cmp_ne_u32_e32 vcc, 0, v6
	v_cndmask_b32_e32 v5, v10, v7, vcc
	v_cmp_ne_u32_e32 vcc, 0, v4
	v_cndmask_b32_e32 v3, v3, v5, vcc
	v_xor_b32_e32 v4, s34, v8
	v_xor_b32_e32 v3, v3, v4
	v_sub_co_u32_e32 v6, vcc, v3, v4
                                        ; implicit-def: $vgpr4_vgpr5
.LBB9_14:                               ;   in Loop: Header=BB9_4 Depth=1
	s_andn2_saveexec_b64 s[2:3], s[30:31]
	s_cbranch_execz .LBB9_2
; %bb.15:                               ;   in Loop: Header=BB9_4 Depth=1
	v_cvt_f32_u32_e32 v3, s33
	s_sub_i32 s30, 0, s33
	v_rcp_iflag_f32_e32 v3, v3
	v_mul_f32_e32 v3, 0x4f7ffffe, v3
	v_cvt_u32_f32_e32 v3, v3
	v_mul_lo_u32 v5, s30, v3
	v_mul_hi_u32 v5, v3, v5
	v_add_u32_e32 v3, v3, v5
	v_mul_hi_u32 v3, v4, v3
	v_mul_lo_u32 v5, v3, s33
	v_sub_u32_e32 v4, v4, v5
	v_add_u32_e32 v6, 1, v3
	v_subrev_u32_e32 v5, s33, v4
	v_cmp_le_u32_e32 vcc, s33, v4
	v_cndmask_b32_e32 v4, v4, v5, vcc
	v_cndmask_b32_e32 v3, v3, v6, vcc
	v_add_u32_e32 v5, 1, v3
	v_cmp_le_u32_e32 vcc, s33, v4
	v_cndmask_b32_e32 v6, v3, v5, vcc
	s_branch .LBB9_2
.LBB9_16:
	s_endpgm
	.section	.rodata,"a",@progbits
	.p2align	6, 0x0
	.amdhsa_kernel _ZN2at4cuda17kernelHistogram1DIdhlLi1ELi2ELin1ELNS0_23CUDAHistogramMemoryTypeE1EZNS0_21CUDA_tensor_histogramIdhLb1EEEbNS_6TensorES4_S4_lNS_14AccumulateTypeIT0_Lb1EE4typeES8_NS0_13TensorArgTypeES9_S9_EUllE_EEvNS0_6detail10TensorInfoIT_T1_EESF_NSC_IKS6_SE_EElS8_S8_SE_T6_
		.amdhsa_group_segment_fixed_size 0
		.amdhsa_private_segment_fixed_size 0
		.amdhsa_kernarg_size 1952
		.amdhsa_user_sgpr_count 6
		.amdhsa_user_sgpr_private_segment_buffer 1
		.amdhsa_user_sgpr_dispatch_ptr 0
		.amdhsa_user_sgpr_queue_ptr 0
		.amdhsa_user_sgpr_kernarg_segment_ptr 1
		.amdhsa_user_sgpr_dispatch_id 0
		.amdhsa_user_sgpr_flat_scratch_init 0
		.amdhsa_user_sgpr_kernarg_preload_length 0
		.amdhsa_user_sgpr_kernarg_preload_offset 0
		.amdhsa_user_sgpr_private_segment_size 0
		.amdhsa_uses_dynamic_stack 0
		.amdhsa_system_sgpr_private_segment_wavefront_offset 0
		.amdhsa_system_sgpr_workgroup_id_x 1
		.amdhsa_system_sgpr_workgroup_id_y 0
		.amdhsa_system_sgpr_workgroup_id_z 0
		.amdhsa_system_sgpr_workgroup_info 0
		.amdhsa_system_vgpr_workitem_id 0
		.amdhsa_next_free_vgpr 18
		.amdhsa_next_free_sgpr 45
		.amdhsa_accum_offset 20
		.amdhsa_reserve_vcc 1
		.amdhsa_reserve_flat_scratch 0
		.amdhsa_float_round_mode_32 0
		.amdhsa_float_round_mode_16_64 0
		.amdhsa_float_denorm_mode_32 3
		.amdhsa_float_denorm_mode_16_64 3
		.amdhsa_dx10_clamp 1
		.amdhsa_ieee_mode 1
		.amdhsa_fp16_overflow 0
		.amdhsa_tg_split 0
		.amdhsa_exception_fp_ieee_invalid_op 0
		.amdhsa_exception_fp_denorm_src 0
		.amdhsa_exception_fp_ieee_div_zero 0
		.amdhsa_exception_fp_ieee_overflow 0
		.amdhsa_exception_fp_ieee_underflow 0
		.amdhsa_exception_fp_ieee_inexact 0
		.amdhsa_exception_int_div_zero 0
	.end_amdhsa_kernel
	.section	.text._ZN2at4cuda17kernelHistogram1DIdhlLi1ELi2ELin1ELNS0_23CUDAHistogramMemoryTypeE1EZNS0_21CUDA_tensor_histogramIdhLb1EEEbNS_6TensorES4_S4_lNS_14AccumulateTypeIT0_Lb1EE4typeES8_NS0_13TensorArgTypeES9_S9_EUllE_EEvNS0_6detail10TensorInfoIT_T1_EESF_NSC_IKS6_SE_EElS8_S8_SE_T6_,"axG",@progbits,_ZN2at4cuda17kernelHistogram1DIdhlLi1ELi2ELin1ELNS0_23CUDAHistogramMemoryTypeE1EZNS0_21CUDA_tensor_histogramIdhLb1EEEbNS_6TensorES4_S4_lNS_14AccumulateTypeIT0_Lb1EE4typeES8_NS0_13TensorArgTypeES9_S9_EUllE_EEvNS0_6detail10TensorInfoIT_T1_EESF_NSC_IKS6_SE_EElS8_S8_SE_T6_,comdat
.Lfunc_end9:
	.size	_ZN2at4cuda17kernelHistogram1DIdhlLi1ELi2ELin1ELNS0_23CUDAHistogramMemoryTypeE1EZNS0_21CUDA_tensor_histogramIdhLb1EEEbNS_6TensorES4_S4_lNS_14AccumulateTypeIT0_Lb1EE4typeES8_NS0_13TensorArgTypeES9_S9_EUllE_EEvNS0_6detail10TensorInfoIT_T1_EESF_NSC_IKS6_SE_EElS8_S8_SE_T6_, .Lfunc_end9-_ZN2at4cuda17kernelHistogram1DIdhlLi1ELi2ELin1ELNS0_23CUDAHistogramMemoryTypeE1EZNS0_21CUDA_tensor_histogramIdhLb1EEEbNS_6TensorES4_S4_lNS_14AccumulateTypeIT0_Lb1EE4typeES8_NS0_13TensorArgTypeES9_S9_EUllE_EEvNS0_6detail10TensorInfoIT_T1_EESF_NSC_IKS6_SE_EElS8_S8_SE_T6_
                                        ; -- End function
	.section	.AMDGPU.csdata,"",@progbits
; Kernel info:
; codeLenInByte = 2280
; NumSgprs: 49
; NumVgprs: 18
; NumAgprs: 0
; TotalNumVgprs: 18
; ScratchSize: 0
; MemoryBound: 0
; FloatMode: 240
; IeeeMode: 1
; LDSByteSize: 0 bytes/workgroup (compile time only)
; SGPRBlocks: 6
; VGPRBlocks: 2
; NumSGPRsForWavesPerEU: 49
; NumVGPRsForWavesPerEU: 18
; AccumOffset: 20
; Occupancy: 8
; WaveLimiterHint : 1
; COMPUTE_PGM_RSRC2:SCRATCH_EN: 0
; COMPUTE_PGM_RSRC2:USER_SGPR: 6
; COMPUTE_PGM_RSRC2:TRAP_HANDLER: 0
; COMPUTE_PGM_RSRC2:TGID_X_EN: 1
; COMPUTE_PGM_RSRC2:TGID_Y_EN: 0
; COMPUTE_PGM_RSRC2:TGID_Z_EN: 0
; COMPUTE_PGM_RSRC2:TIDIG_COMP_CNT: 0
; COMPUTE_PGM_RSRC3_GFX90A:ACCUM_OFFSET: 4
; COMPUTE_PGM_RSRC3_GFX90A:TG_SPLIT: 0
	.section	.text._ZN2at4cuda17kernelHistogram1DIdhlLi1ELi2ELin1ELNS0_23CUDAHistogramMemoryTypeE0EZNS0_21CUDA_tensor_histogramIdhLb1EEEbNS_6TensorES4_S4_lNS_14AccumulateTypeIT0_Lb1EE4typeES8_NS0_13TensorArgTypeES9_S9_EUllE0_EEvNS0_6detail10TensorInfoIT_T1_EESF_NSC_IKS6_SE_EElS8_S8_SE_T6_,"axG",@progbits,_ZN2at4cuda17kernelHistogram1DIdhlLi1ELi2ELin1ELNS0_23CUDAHistogramMemoryTypeE0EZNS0_21CUDA_tensor_histogramIdhLb1EEEbNS_6TensorES4_S4_lNS_14AccumulateTypeIT0_Lb1EE4typeES8_NS0_13TensorArgTypeES9_S9_EUllE0_EEvNS0_6detail10TensorInfoIT_T1_EESF_NSC_IKS6_SE_EElS8_S8_SE_T6_,comdat
	.protected	_ZN2at4cuda17kernelHistogram1DIdhlLi1ELi2ELin1ELNS0_23CUDAHistogramMemoryTypeE0EZNS0_21CUDA_tensor_histogramIdhLb1EEEbNS_6TensorES4_S4_lNS_14AccumulateTypeIT0_Lb1EE4typeES8_NS0_13TensorArgTypeES9_S9_EUllE0_EEvNS0_6detail10TensorInfoIT_T1_EESF_NSC_IKS6_SE_EElS8_S8_SE_T6_ ; -- Begin function _ZN2at4cuda17kernelHistogram1DIdhlLi1ELi2ELin1ELNS0_23CUDAHistogramMemoryTypeE0EZNS0_21CUDA_tensor_histogramIdhLb1EEEbNS_6TensorES4_S4_lNS_14AccumulateTypeIT0_Lb1EE4typeES8_NS0_13TensorArgTypeES9_S9_EUllE0_EEvNS0_6detail10TensorInfoIT_T1_EESF_NSC_IKS6_SE_EElS8_S8_SE_T6_
	.globl	_ZN2at4cuda17kernelHistogram1DIdhlLi1ELi2ELin1ELNS0_23CUDAHistogramMemoryTypeE0EZNS0_21CUDA_tensor_histogramIdhLb1EEEbNS_6TensorES4_S4_lNS_14AccumulateTypeIT0_Lb1EE4typeES8_NS0_13TensorArgTypeES9_S9_EUllE0_EEvNS0_6detail10TensorInfoIT_T1_EESF_NSC_IKS6_SE_EElS8_S8_SE_T6_
	.p2align	8
	.type	_ZN2at4cuda17kernelHistogram1DIdhlLi1ELi2ELin1ELNS0_23CUDAHistogramMemoryTypeE0EZNS0_21CUDA_tensor_histogramIdhLb1EEEbNS_6TensorES4_S4_lNS_14AccumulateTypeIT0_Lb1EE4typeES8_NS0_13TensorArgTypeES9_S9_EUllE0_EEvNS0_6detail10TensorInfoIT_T1_EESF_NSC_IKS6_SE_EElS8_S8_SE_T6_,@function
_ZN2at4cuda17kernelHistogram1DIdhlLi1ELi2ELin1ELNS0_23CUDAHistogramMemoryTypeE0EZNS0_21CUDA_tensor_histogramIdhLb1EEEbNS_6TensorES4_S4_lNS_14AccumulateTypeIT0_Lb1EE4typeES8_NS0_13TensorArgTypeES9_S9_EUllE0_EEvNS0_6detail10TensorInfoIT_T1_EESF_NSC_IKS6_SE_EElS8_S8_SE_T6_: ; @_ZN2at4cuda17kernelHistogram1DIdhlLi1ELi2ELin1ELNS0_23CUDAHistogramMemoryTypeE0EZNS0_21CUDA_tensor_histogramIdhLb1EEEbNS_6TensorES4_S4_lNS_14AccumulateTypeIT0_Lb1EE4typeES8_NS0_13TensorArgTypeES9_S9_EUllE0_EEvNS0_6detail10TensorInfoIT_T1_EESF_NSC_IKS6_SE_EElS8_S8_SE_T6_
; %bb.0:
	s_load_dwordx4 s[16:19], s[4:5], 0x0
	v_mov_b32_e32 v1, 0
	s_add_u32 s2, s4, 0x508
	s_addc_u32 s3, s5, 0
                                        ; implicit-def: $sgpr7
                                        ; implicit-def: $sgpr10
	s_waitcnt lgkmcnt(0)
	v_cmp_gt_i64_e64 s[0:1], s[18:19], v[0:1]
	v_cmp_le_i64_e32 vcc, s[18:19], v[0:1]
	s_and_saveexec_b64 s[8:9], vcc
	s_xor_b64 s[8:9], exec, s[8:9]
	s_cbranch_execz .LBB10_2
; %bb.1:
	s_load_dword s7, s[2:3], 0xc
	s_waitcnt lgkmcnt(0)
	s_and_b32 s10, s7, 0xffff
.LBB10_2:
	s_or_saveexec_b64 s[8:9], s[8:9]
	s_load_dwordx2 s[20:21], s[4:5], 0xd0
	v_mov_b32_e32 v7, s7
	v_mov_b32_e32 v15, s10
	v_lshl_add_u32 v14, v0, 3, 0
	s_xor_b64 exec, exec, s[8:9]
	s_cbranch_execz .LBB10_6
; %bb.3:
	s_load_dword s7, s[2:3], 0xc
	s_mov_b32 s14, 0
	v_mov_b32_e32 v2, 0
	v_lshl_add_u32 v6, v0, 3, 0
	s_mov_b64 s[10:11], 0
	s_waitcnt lgkmcnt(0)
	s_and_b32 s12, s7, 0xffff
	s_lshl_b32 s13, s12, 3
	v_mov_b32_e32 v3, v2
	v_mov_b32_e32 v7, s14
	v_pk_mov_b32 v[4:5], v[0:1], v[0:1] op_sel:[0,1]
.LBB10_4:                               ; =>This Inner Loop Header: Depth=1
	v_add_co_u32_e32 v4, vcc, s12, v4
	v_addc_co_u32_e32 v5, vcc, v5, v7, vcc
	v_cmp_le_i64_e32 vcc, s[18:19], v[4:5]
	ds_write_b64 v6, v[2:3]
	s_or_b64 s[10:11], vcc, s[10:11]
	v_add_u32_e32 v6, s13, v6
	s_andn2_b64 exec, exec, s[10:11]
	s_cbranch_execnz .LBB10_4
; %bb.5:
	s_or_b64 exec, exec, s[10:11]
	v_mov_b32_e32 v7, s7
	v_mov_b32_e32 v15, s12
.LBB10_6:
	s_or_b64 exec, exec, s[8:9]
	s_load_dwordx8 s[8:15], s[4:5], 0x4e0
	v_mad_u64_u32 v[2:3], s[6:7], s6, v15, v[0:1]
	v_mov_b32_e32 v4, 0
	v_mov_b32_e32 v3, v4
	s_waitcnt lgkmcnt(0)
	v_cmp_gt_i64_e32 vcc, s[14:15], v[2:3]
	s_barrier
	s_and_saveexec_b64 s[6:7], vcc
	s_cbranch_execz .LBB10_22
; %bb.7:
	s_load_dword s26, s[4:5], 0x4d8
	s_load_dwordx2 s[22:23], s[4:5], 0x410
	s_load_dwordx2 s[24:25], s[4:5], 0x340
	s_load_dword s27, s[2:3], 0x0
	s_add_u32 s28, s4, 0x340
	s_addc_u32 s29, s5, 0
	s_waitcnt lgkmcnt(0)
	s_cmp_gt_i32 s26, 1
	s_cselect_b64 s[2:3], -1, 0
	s_sub_u32 s33, s12, s10
	s_subb_u32 s46, s13, s11
	v_mul_lo_u32 v6, s27, v15
	s_mov_b32 s27, 0
	s_add_i32 s47, s26, 1
	s_add_i32 s26, s26, -1
	s_lshl_b64 s[4:5], s[26:27], 3
	s_add_u32 s4, s4, s28
	s_addc_u32 s5, s5, s29
	s_add_u32 s28, s4, 8
	v_cndmask_b32_e64 v5, 0, 1, s[2:3]
	s_addc_u32 s29, s5, 0
	s_mov_b64 s[30:31], 0
	v_cmp_ne_u32_e64 s[2:3], 1, v5
	s_mov_b64 s[34:35], src_shared_base
	s_branch .LBB10_10
.LBB10_8:                               ;   in Loop: Header=BB10_10 Depth=1
	s_or_b64 exec, exec, s[4:5]
	v_ashrrev_i32_e32 v11, 31, v10
	v_cmp_eq_u64_e32 vcc, s[8:9], v[10:11]
	v_subbrev_co_u32_e32 v5, vcc, 0, v10, vcc
	v_mov_b32_e32 v10, 0
	v_lshl_add_u32 v8, v5, 3, 0
	v_mov_b32_e32 v9, s35
	v_mov_b32_e32 v11, 0x3ff00000
	flat_atomic_add_f64 v[8:9], v[10:11]
.LBB10_9:                               ;   in Loop: Header=BB10_10 Depth=1
	s_or_b64 exec, exec, s[36:37]
	v_add_co_u32_e32 v2, vcc, v2, v6
	v_addc_co_u32_e32 v3, vcc, 0, v3, vcc
	v_cmp_le_i64_e32 vcc, s[14:15], v[2:3]
	s_or_b64 s[30:31], vcc, s[30:31]
	s_andn2_b64 exec, exec, s[30:31]
	s_cbranch_execz .LBB10_22
.LBB10_10:                              ; =>This Loop Header: Depth=1
                                        ;     Child Loop BB10_11 Depth 2
	s_and_b64 vcc, exec, s[2:3]
	v_pk_mov_b32 v[8:9], 0, 0
	s_mov_b64 s[36:37], s[28:29]
	s_mov_b32 s26, s47
	v_pk_mov_b32 v[10:11], v[2:3], v[2:3] op_sel:[0,1]
	v_pk_mov_b32 v[12:13], v[2:3], v[2:3] op_sel:[0,1]
	s_cbranch_vccnz .LBB10_17
.LBB10_11:                              ;   Parent Loop BB10_10 Depth=1
                                        ; =>  This Inner Loop Header: Depth=2
	s_load_dwordx2 s[38:39], s[36:37], 0x0
                                        ; implicit-def: $vgpr12_vgpr13
	s_waitcnt lgkmcnt(0)
	v_or_b32_e32 v5, s39, v11
	v_cmp_ne_u64_e32 vcc, 0, v[4:5]
	s_and_saveexec_b64 s[4:5], vcc
	s_xor_b64 s[40:41], exec, s[4:5]
	s_cbranch_execz .LBB10_13
; %bb.12:                               ;   in Loop: Header=BB10_11 Depth=2
	s_ashr_i32 s42, s39, 31
	s_add_u32 s4, s38, s42
	s_mov_b32 s43, s42
	s_addc_u32 s5, s39, s42
	s_xor_b64 s[44:45], s[4:5], s[42:43]
	v_cvt_f32_u32_e32 v5, s44
	v_cvt_f32_u32_e32 v12, s45
	s_sub_u32 s4, 0, s44
	s_subb_u32 s5, 0, s45
	v_mac_f32_e32 v5, 0x4f800000, v12
	v_rcp_f32_e32 v5, v5
	v_mul_f32_e32 v5, 0x5f7ffffc, v5
	v_mul_f32_e32 v12, 0x2f800000, v5
	v_trunc_f32_e32 v12, v12
	v_mac_f32_e32 v5, 0xcf800000, v12
	v_cvt_u32_f32_e32 v12, v12
	v_cvt_u32_f32_e32 v5, v5
	v_mul_lo_u32 v13, s4, v12
	v_mul_hi_u32 v17, s4, v5
	v_mul_lo_u32 v16, s5, v5
	v_add_u32_e32 v13, v17, v13
	v_mul_lo_u32 v18, s4, v5
	v_add_u32_e32 v13, v13, v16
	v_mul_lo_u32 v17, v5, v13
	v_mul_hi_u32 v19, v5, v18
	v_mul_hi_u32 v16, v5, v13
	v_add_co_u32_e32 v17, vcc, v19, v17
	v_addc_co_u32_e32 v16, vcc, 0, v16, vcc
	v_mul_hi_u32 v20, v12, v18
	v_mul_lo_u32 v18, v12, v18
	v_add_co_u32_e32 v17, vcc, v17, v18
	v_mul_hi_u32 v19, v12, v13
	v_addc_co_u32_e32 v16, vcc, v16, v20, vcc
	v_addc_co_u32_e32 v17, vcc, 0, v19, vcc
	v_mul_lo_u32 v13, v12, v13
	v_add_co_u32_e32 v13, vcc, v16, v13
	v_addc_co_u32_e32 v16, vcc, 0, v17, vcc
	v_add_co_u32_e32 v5, vcc, v5, v13
	v_addc_co_u32_e32 v12, vcc, v12, v16, vcc
	v_mul_lo_u32 v13, s4, v12
	v_mul_hi_u32 v16, s4, v5
	v_add_u32_e32 v13, v16, v13
	v_mul_lo_u32 v16, s5, v5
	v_add_u32_e32 v13, v13, v16
	v_mul_lo_u32 v17, s4, v5
	v_mul_hi_u32 v18, v12, v17
	v_mul_lo_u32 v19, v12, v17
	v_mul_lo_u32 v21, v5, v13
	v_mul_hi_u32 v17, v5, v17
	v_mul_hi_u32 v20, v5, v13
	v_add_co_u32_e32 v17, vcc, v17, v21
	v_addc_co_u32_e32 v20, vcc, 0, v20, vcc
	v_add_co_u32_e32 v17, vcc, v17, v19
	v_mul_hi_u32 v16, v12, v13
	v_addc_co_u32_e32 v17, vcc, v20, v18, vcc
	v_addc_co_u32_e32 v16, vcc, 0, v16, vcc
	v_mul_lo_u32 v13, v12, v13
	v_add_co_u32_e32 v13, vcc, v17, v13
	v_addc_co_u32_e32 v16, vcc, 0, v16, vcc
	v_add_co_u32_e32 v5, vcc, v5, v13
	v_addc_co_u32_e32 v16, vcc, v12, v16, vcc
	v_ashrrev_i32_e32 v18, 31, v11
	v_add_co_u32_e32 v12, vcc, v10, v18
	v_addc_co_u32_e32 v13, vcc, v11, v18, vcc
	v_xor_b32_e32 v20, v12, v18
	v_xor_b32_e32 v19, v13, v18
	v_mad_u64_u32 v[12:13], s[4:5], v20, v16, 0
	v_mul_hi_u32 v17, v20, v5
	v_add_co_u32_e32 v21, vcc, v17, v12
	v_addc_co_u32_e32 v22, vcc, 0, v13, vcc
	v_mad_u64_u32 v[12:13], s[4:5], v19, v16, 0
	v_mad_u64_u32 v[16:17], s[4:5], v19, v5, 0
	v_add_co_u32_e32 v5, vcc, v21, v16
	v_addc_co_u32_e32 v5, vcc, v22, v17, vcc
	v_addc_co_u32_e32 v13, vcc, 0, v13, vcc
	v_add_co_u32_e32 v5, vcc, v5, v12
	v_addc_co_u32_e32 v16, vcc, 0, v13, vcc
	v_mul_lo_u32 v17, s45, v5
	v_mul_lo_u32 v21, s44, v16
	v_mad_u64_u32 v[12:13], s[4:5], s44, v5, 0
	v_add3_u32 v13, v13, v21, v17
	v_sub_u32_e32 v17, v19, v13
	v_mov_b32_e32 v21, s45
	v_sub_co_u32_e32 v12, vcc, v20, v12
	v_subb_co_u32_e64 v17, s[4:5], v17, v21, vcc
	v_subrev_co_u32_e64 v20, s[4:5], s44, v12
	v_subbrev_co_u32_e64 v17, s[4:5], 0, v17, s[4:5]
	v_cmp_le_u32_e64 s[4:5], s45, v17
	v_cndmask_b32_e64 v21, 0, -1, s[4:5]
	v_cmp_le_u32_e64 s[4:5], s44, v20
	v_cndmask_b32_e64 v20, 0, -1, s[4:5]
	v_cmp_eq_u32_e64 s[4:5], s45, v17
	v_cndmask_b32_e64 v17, v21, v20, s[4:5]
	v_add_co_u32_e64 v20, s[4:5], 2, v5
	v_subb_co_u32_e32 v13, vcc, v19, v13, vcc
	v_addc_co_u32_e64 v21, s[4:5], 0, v16, s[4:5]
	v_cmp_le_u32_e32 vcc, s45, v13
	v_add_co_u32_e64 v22, s[4:5], 1, v5
	v_cndmask_b32_e64 v19, 0, -1, vcc
	v_cmp_le_u32_e32 vcc, s44, v12
	v_addc_co_u32_e64 v23, s[4:5], 0, v16, s[4:5]
	v_cndmask_b32_e64 v12, 0, -1, vcc
	v_cmp_eq_u32_e32 vcc, s45, v13
	v_cmp_ne_u32_e64 s[4:5], 0, v17
	v_cndmask_b32_e32 v12, v19, v12, vcc
	v_cmp_ne_u32_e32 vcc, 0, v12
	v_cndmask_b32_e64 v13, v22, v20, s[4:5]
	v_cndmask_b32_e64 v17, v23, v21, s[4:5]
	v_cndmask_b32_e32 v5, v5, v13, vcc
	v_xor_b32_e32 v13, s42, v18
	v_cndmask_b32_e32 v12, v16, v17, vcc
	v_xor_b32_e32 v5, v5, v13
	v_xor_b32_e32 v16, v12, v13
	v_sub_co_u32_e32 v12, vcc, v5, v13
	v_subb_co_u32_e32 v13, vcc, v16, v13, vcc
.LBB10_13:                              ;   in Loop: Header=BB10_11 Depth=2
	s_andn2_saveexec_b64 s[4:5], s[40:41]
	s_cbranch_execz .LBB10_15
; %bb.14:                               ;   in Loop: Header=BB10_11 Depth=2
	v_cvt_f32_u32_e32 v5, s38
	s_sub_i32 s34, 0, s38
	v_rcp_iflag_f32_e32 v5, v5
	v_mul_f32_e32 v5, 0x4f7ffffe, v5
	v_cvt_u32_f32_e32 v5, v5
	v_mul_lo_u32 v12, s34, v5
	v_mul_hi_u32 v12, v5, v12
	v_add_u32_e32 v5, v5, v12
	v_mul_hi_u32 v5, v10, v5
	v_mul_lo_u32 v12, v5, s38
	v_sub_u32_e32 v12, v10, v12
	v_add_u32_e32 v13, 1, v5
	v_subrev_u32_e32 v16, s38, v12
	v_cmp_le_u32_e32 vcc, s38, v12
	v_cndmask_b32_e32 v12, v12, v16, vcc
	v_cndmask_b32_e32 v5, v5, v13, vcc
	v_add_u32_e32 v13, 1, v5
	v_cmp_le_u32_e32 vcc, s38, v12
	v_cndmask_b32_e32 v12, v5, v13, vcc
	v_mov_b32_e32 v13, v4
.LBB10_15:                              ;   in Loop: Header=BB10_11 Depth=2
	s_or_b64 exec, exec, s[4:5]
	v_mad_u64_u32 v[16:17], s[4:5], v12, s38, 0
	s_load_dwordx2 s[4:5], s[36:37], 0xc8
	v_mul_lo_u32 v5, v13, s38
	v_mul_lo_u32 v18, v12, s39
	v_add3_u32 v5, v17, v18, v5
	v_sub_co_u32_e32 v10, vcc, v10, v16
	s_add_i32 s26, s26, -1
	v_subb_co_u32_e32 v5, vcc, v11, v5, vcc
	s_add_u32 s36, s36, -8
	s_waitcnt lgkmcnt(0)
	v_mul_lo_u32 v5, s4, v5
	v_mul_lo_u32 v11, s5, v10
	v_mad_u64_u32 v[8:9], s[4:5], s4, v10, v[8:9]
	s_addc_u32 s37, s37, -1
	s_cmp_gt_u32 s26, 2
	v_add3_u32 v9, v11, v9, v5
	s_cbranch_scc0 .LBB10_17
; %bb.16:                               ;   in Loop: Header=BB10_11 Depth=2
	v_pk_mov_b32 v[10:11], v[12:13], v[12:13] op_sel:[0,1]
	s_branch .LBB10_11
.LBB10_17:                              ;   in Loop: Header=BB10_10 Depth=1
	v_pk_mov_b32 v[10:11], s[24:25], s[24:25] op_sel:[0,1]
	v_mad_u64_u32 v[10:11], s[4:5], s22, v12, v[10:11]
	v_mul_lo_u32 v5, s22, v13
	v_mul_lo_u32 v12, s23, v12
	v_add3_u32 v5, v12, v11, v5
	v_add_co_u32_e32 v8, vcc, v10, v8
	v_addc_co_u32_e32 v9, vcc, v5, v9, vcc
	global_load_ubyte v5, v[8:9], off
	v_mov_b32_e32 v9, s27
	s_waitcnt vmcnt(0)
	v_and_b32_e32 v8, 0xffff, v5
	v_cmp_le_i64_e32 vcc, s[10:11], v[8:9]
	v_cmp_ge_i64_e64 s[4:5], s[12:13], v[8:9]
	s_and_b64 s[4:5], vcc, s[4:5]
	s_and_saveexec_b64 s[36:37], s[4:5]
	s_cbranch_execz .LBB10_9
; %bb.18:                               ;   in Loop: Header=BB10_10 Depth=1
	v_mov_b32_e32 v5, s11
	v_subrev_co_u32_e32 v8, vcc, s10, v8
	v_subb_co_u32_e32 v5, vcc, 0, v5, vcc
	v_mul_lo_u32 v5, v5, s8
	v_mul_lo_u32 v10, v8, s9
	v_mad_u64_u32 v[8:9], s[4:5], v8, s8, 0
	v_add3_u32 v9, v9, v10, v5
	v_or_b32_e32 v5, s46, v9
	v_cmp_ne_u64_e32 vcc, 0, v[4:5]
                                        ; implicit-def: $vgpr10_vgpr11
	s_and_saveexec_b64 s[4:5], vcc
	s_xor_b64 s[38:39], exec, s[4:5]
	s_cbranch_execz .LBB10_20
; %bb.19:                               ;   in Loop: Header=BB10_10 Depth=1
	s_ashr_i32 s40, s46, 31
	s_add_u32 s4, s33, s40
	s_mov_b32 s41, s40
	s_addc_u32 s5, s46, s40
	s_xor_b64 s[42:43], s[4:5], s[40:41]
	v_cvt_f32_u32_e32 v5, s42
	v_cvt_f32_u32_e32 v10, s43
	s_sub_u32 s4, 0, s42
	s_subb_u32 s5, 0, s43
	v_mac_f32_e32 v5, 0x4f800000, v10
	v_rcp_f32_e32 v5, v5
	v_mul_f32_e32 v5, 0x5f7ffffc, v5
	v_mul_f32_e32 v10, 0x2f800000, v5
	v_trunc_f32_e32 v10, v10
	v_mac_f32_e32 v5, 0xcf800000, v10
	v_cvt_u32_f32_e32 v10, v10
	v_cvt_u32_f32_e32 v5, v5
	v_mul_lo_u32 v11, s4, v10
	v_mul_hi_u32 v13, s4, v5
	v_mul_lo_u32 v12, s5, v5
	v_add_u32_e32 v11, v13, v11
	v_mul_lo_u32 v16, s4, v5
	v_add_u32_e32 v11, v11, v12
	v_mul_lo_u32 v13, v5, v11
	v_mul_hi_u32 v17, v5, v16
	v_mul_hi_u32 v12, v5, v11
	v_add_co_u32_e32 v13, vcc, v17, v13
	v_addc_co_u32_e32 v12, vcc, 0, v12, vcc
	v_mul_hi_u32 v18, v10, v16
	v_mul_lo_u32 v16, v10, v16
	v_add_co_u32_e32 v13, vcc, v13, v16
	v_mul_hi_u32 v17, v10, v11
	v_addc_co_u32_e32 v12, vcc, v12, v18, vcc
	v_addc_co_u32_e32 v13, vcc, 0, v17, vcc
	v_mul_lo_u32 v11, v10, v11
	v_add_co_u32_e32 v11, vcc, v12, v11
	v_addc_co_u32_e32 v12, vcc, 0, v13, vcc
	v_add_co_u32_e32 v5, vcc, v5, v11
	v_addc_co_u32_e32 v10, vcc, v10, v12, vcc
	v_mul_lo_u32 v11, s4, v10
	v_mul_hi_u32 v12, s4, v5
	v_add_u32_e32 v11, v12, v11
	v_mul_lo_u32 v12, s5, v5
	v_add_u32_e32 v11, v11, v12
	v_mul_lo_u32 v13, s4, v5
	v_mul_hi_u32 v16, v10, v13
	v_mul_lo_u32 v17, v10, v13
	v_mul_lo_u32 v19, v5, v11
	v_mul_hi_u32 v13, v5, v13
	v_mul_hi_u32 v18, v5, v11
	v_add_co_u32_e32 v13, vcc, v13, v19
	v_addc_co_u32_e32 v18, vcc, 0, v18, vcc
	v_add_co_u32_e32 v13, vcc, v13, v17
	v_mul_hi_u32 v12, v10, v11
	v_addc_co_u32_e32 v13, vcc, v18, v16, vcc
	v_addc_co_u32_e32 v12, vcc, 0, v12, vcc
	v_mul_lo_u32 v11, v10, v11
	v_add_co_u32_e32 v11, vcc, v13, v11
	v_addc_co_u32_e32 v12, vcc, 0, v12, vcc
	v_add_co_u32_e32 v5, vcc, v5, v11
	v_addc_co_u32_e32 v10, vcc, v10, v12, vcc
	v_ashrrev_i32_e32 v12, 31, v9
	v_add_co_u32_e32 v8, vcc, v8, v12
	v_addc_co_u32_e32 v9, vcc, v9, v12, vcc
	v_xor_b32_e32 v16, v8, v12
	v_xor_b32_e32 v13, v9, v12
	v_mad_u64_u32 v[8:9], s[4:5], v16, v10, 0
	v_mul_hi_u32 v11, v16, v5
	v_add_co_u32_e32 v17, vcc, v11, v8
	v_addc_co_u32_e32 v18, vcc, 0, v9, vcc
	v_mad_u64_u32 v[8:9], s[4:5], v13, v10, 0
	v_mad_u64_u32 v[10:11], s[4:5], v13, v5, 0
	v_add_co_u32_e32 v5, vcc, v17, v10
	v_addc_co_u32_e32 v5, vcc, v18, v11, vcc
	v_addc_co_u32_e32 v9, vcc, 0, v9, vcc
	v_add_co_u32_e32 v5, vcc, v5, v8
	v_addc_co_u32_e32 v8, vcc, 0, v9, vcc
	v_mul_lo_u32 v10, s43, v5
	v_mul_lo_u32 v11, s42, v8
	v_mad_u64_u32 v[8:9], s[4:5], s42, v5, 0
	v_add3_u32 v9, v9, v11, v10
	v_sub_u32_e32 v10, v13, v9
	v_mov_b32_e32 v11, s43
	v_sub_co_u32_e32 v8, vcc, v16, v8
	v_subb_co_u32_e64 v10, s[4:5], v10, v11, vcc
	v_subrev_co_u32_e64 v11, s[4:5], s42, v8
	v_subbrev_co_u32_e64 v10, s[4:5], 0, v10, s[4:5]
	v_cmp_le_u32_e64 s[4:5], s43, v10
	v_subb_co_u32_e32 v9, vcc, v13, v9, vcc
	v_cndmask_b32_e64 v16, 0, -1, s[4:5]
	v_cmp_le_u32_e64 s[4:5], s42, v11
	v_cmp_le_u32_e32 vcc, s43, v9
	v_cndmask_b32_e64 v11, 0, -1, s[4:5]
	v_cmp_eq_u32_e64 s[4:5], s43, v10
	v_cndmask_b32_e64 v13, 0, -1, vcc
	v_cmp_le_u32_e32 vcc, s42, v8
	v_cndmask_b32_e64 v10, v16, v11, s[4:5]
	v_cndmask_b32_e64 v8, 0, -1, vcc
	v_cmp_eq_u32_e32 vcc, s43, v9
	v_add_co_u32_e64 v11, s[4:5], 2, v5
	v_add_co_u32_e64 v16, s[4:5], 1, v5
	v_cndmask_b32_e32 v8, v13, v8, vcc
	v_cmp_ne_u32_e32 vcc, 0, v10
	v_cndmask_b32_e32 v9, v16, v11, vcc
	v_cmp_ne_u32_e32 vcc, 0, v8
	v_cndmask_b32_e32 v5, v5, v9, vcc
	v_xor_b32_e32 v8, s40, v12
	v_xor_b32_e32 v5, v5, v8
	v_sub_co_u32_e32 v10, vcc, v5, v8
                                        ; implicit-def: $vgpr8_vgpr9
.LBB10_20:                              ;   in Loop: Header=BB10_10 Depth=1
	s_andn2_saveexec_b64 s[4:5], s[38:39]
	s_cbranch_execz .LBB10_8
; %bb.21:                               ;   in Loop: Header=BB10_10 Depth=1
	v_cvt_f32_u32_e32 v5, s33
	s_sub_i32 s26, 0, s33
	v_rcp_iflag_f32_e32 v5, v5
	v_mul_f32_e32 v5, 0x4f7ffffe, v5
	v_cvt_u32_f32_e32 v5, v5
	v_mul_lo_u32 v9, s26, v5
	v_mul_hi_u32 v9, v5, v9
	v_add_u32_e32 v5, v5, v9
	v_mul_hi_u32 v5, v8, v5
	v_mul_lo_u32 v9, v5, s33
	v_sub_u32_e32 v8, v8, v9
	v_add_u32_e32 v10, 1, v5
	v_subrev_u32_e32 v9, s33, v8
	v_cmp_le_u32_e32 vcc, s33, v8
	v_cndmask_b32_e32 v8, v8, v9, vcc
	v_cndmask_b32_e32 v5, v5, v10, vcc
	v_add_u32_e32 v9, 1, v5
	v_cmp_le_u32_e32 vcc, s33, v8
	v_cndmask_b32_e32 v10, v5, v9, vcc
	s_branch .LBB10_8
.LBB10_22:
	s_or_b64 exec, exec, s[6:7]
; %bb.23:
	s_waitcnt lgkmcnt(0)
	s_barrier
	s_and_saveexec_b64 s[2:3], s[0:1]
	s_cbranch_execz .LBB10_26
; %bb.24:
	v_mad_u64_u32 v[4:5], s[0:1], s20, v0, 0
	v_mov_b32_e32 v6, v5
	v_and_b32_e32 v2, 0xffff, v7
	v_mad_u64_u32 v[6:7], s[0:1], s21, v0, v[6:7]
	v_mov_b32_e32 v5, v6
	v_mad_u64_u32 v[6:7], s[0:1], s20, v2, 0
	v_mov_b32_e32 v8, v7
	v_lshlrev_b64 v[4:5], 3, v[4:5]
	v_mad_u64_u32 v[8:9], s[0:1], s21, v2, v[8:9]
	v_mov_b32_e32 v3, s17
	v_add_co_u32_e32 v4, vcc, s16, v4
	v_mov_b32_e32 v7, v8
	v_addc_co_u32_e32 v5, vcc, v3, v5, vcc
	v_lshlrev_b64 v[6:7], 3, v[6:7]
	v_lshlrev_b32_e32 v3, 3, v15
	s_mov_b64 s[0:1], 0
.LBB10_25:                              ; =>This Inner Loop Header: Depth=1
	ds_read_b64 v[8:9], v14
	v_add_co_u32_e32 v0, vcc, v0, v2
	v_addc_co_u32_e32 v1, vcc, 0, v1, vcc
	s_waitcnt lgkmcnt(0)
	global_atomic_add_f64 v[4:5], v[8:9], off
	v_cmp_le_i64_e32 vcc, s[18:19], v[0:1]
	s_or_b64 s[0:1], vcc, s[0:1]
	v_add_co_u32_e32 v4, vcc, v4, v6
	v_add_u32_e32 v14, v14, v3
	v_addc_co_u32_e32 v5, vcc, v5, v7, vcc
	s_andn2_b64 exec, exec, s[0:1]
	s_cbranch_execnz .LBB10_25
.LBB10_26:
	s_endpgm
	.section	.rodata,"a",@progbits
	.p2align	6, 0x0
	.amdhsa_kernel _ZN2at4cuda17kernelHistogram1DIdhlLi1ELi2ELin1ELNS0_23CUDAHistogramMemoryTypeE0EZNS0_21CUDA_tensor_histogramIdhLb1EEEbNS_6TensorES4_S4_lNS_14AccumulateTypeIT0_Lb1EE4typeES8_NS0_13TensorArgTypeES9_S9_EUllE0_EEvNS0_6detail10TensorInfoIT_T1_EESF_NSC_IKS6_SE_EElS8_S8_SE_T6_
		.amdhsa_group_segment_fixed_size 0
		.amdhsa_private_segment_fixed_size 0
		.amdhsa_kernarg_size 1544
		.amdhsa_user_sgpr_count 6
		.amdhsa_user_sgpr_private_segment_buffer 1
		.amdhsa_user_sgpr_dispatch_ptr 0
		.amdhsa_user_sgpr_queue_ptr 0
		.amdhsa_user_sgpr_kernarg_segment_ptr 1
		.amdhsa_user_sgpr_dispatch_id 0
		.amdhsa_user_sgpr_flat_scratch_init 0
		.amdhsa_user_sgpr_kernarg_preload_length 0
		.amdhsa_user_sgpr_kernarg_preload_offset 0
		.amdhsa_user_sgpr_private_segment_size 0
		.amdhsa_uses_dynamic_stack 0
		.amdhsa_system_sgpr_private_segment_wavefront_offset 0
		.amdhsa_system_sgpr_workgroup_id_x 1
		.amdhsa_system_sgpr_workgroup_id_y 0
		.amdhsa_system_sgpr_workgroup_id_z 0
		.amdhsa_system_sgpr_workgroup_info 0
		.amdhsa_system_vgpr_workitem_id 0
		.amdhsa_next_free_vgpr 24
		.amdhsa_next_free_sgpr 48
		.amdhsa_accum_offset 24
		.amdhsa_reserve_vcc 1
		.amdhsa_reserve_flat_scratch 0
		.amdhsa_float_round_mode_32 0
		.amdhsa_float_round_mode_16_64 0
		.amdhsa_float_denorm_mode_32 3
		.amdhsa_float_denorm_mode_16_64 3
		.amdhsa_dx10_clamp 1
		.amdhsa_ieee_mode 1
		.amdhsa_fp16_overflow 0
		.amdhsa_tg_split 0
		.amdhsa_exception_fp_ieee_invalid_op 0
		.amdhsa_exception_fp_denorm_src 0
		.amdhsa_exception_fp_ieee_div_zero 0
		.amdhsa_exception_fp_ieee_overflow 0
		.amdhsa_exception_fp_ieee_underflow 0
		.amdhsa_exception_fp_ieee_inexact 0
		.amdhsa_exception_int_div_zero 0
	.end_amdhsa_kernel
	.section	.text._ZN2at4cuda17kernelHistogram1DIdhlLi1ELi2ELin1ELNS0_23CUDAHistogramMemoryTypeE0EZNS0_21CUDA_tensor_histogramIdhLb1EEEbNS_6TensorES4_S4_lNS_14AccumulateTypeIT0_Lb1EE4typeES8_NS0_13TensorArgTypeES9_S9_EUllE0_EEvNS0_6detail10TensorInfoIT_T1_EESF_NSC_IKS6_SE_EElS8_S8_SE_T6_,"axG",@progbits,_ZN2at4cuda17kernelHistogram1DIdhlLi1ELi2ELin1ELNS0_23CUDAHistogramMemoryTypeE0EZNS0_21CUDA_tensor_histogramIdhLb1EEEbNS_6TensorES4_S4_lNS_14AccumulateTypeIT0_Lb1EE4typeES8_NS0_13TensorArgTypeES9_S9_EUllE0_EEvNS0_6detail10TensorInfoIT_T1_EESF_NSC_IKS6_SE_EElS8_S8_SE_T6_,comdat
.Lfunc_end10:
	.size	_ZN2at4cuda17kernelHistogram1DIdhlLi1ELi2ELin1ELNS0_23CUDAHistogramMemoryTypeE0EZNS0_21CUDA_tensor_histogramIdhLb1EEEbNS_6TensorES4_S4_lNS_14AccumulateTypeIT0_Lb1EE4typeES8_NS0_13TensorArgTypeES9_S9_EUllE0_EEvNS0_6detail10TensorInfoIT_T1_EESF_NSC_IKS6_SE_EElS8_S8_SE_T6_, .Lfunc_end10-_ZN2at4cuda17kernelHistogram1DIdhlLi1ELi2ELin1ELNS0_23CUDAHistogramMemoryTypeE0EZNS0_21CUDA_tensor_histogramIdhLb1EEEbNS_6TensorES4_S4_lNS_14AccumulateTypeIT0_Lb1EE4typeES8_NS0_13TensorArgTypeES9_S9_EUllE0_EEvNS0_6detail10TensorInfoIT_T1_EESF_NSC_IKS6_SE_EElS8_S8_SE_T6_
                                        ; -- End function
	.section	.AMDGPU.csdata,"",@progbits
; Kernel info:
; codeLenInByte = 2504
; NumSgprs: 52
; NumVgprs: 24
; NumAgprs: 0
; TotalNumVgprs: 24
; ScratchSize: 0
; MemoryBound: 0
; FloatMode: 240
; IeeeMode: 1
; LDSByteSize: 0 bytes/workgroup (compile time only)
; SGPRBlocks: 6
; VGPRBlocks: 2
; NumSGPRsForWavesPerEU: 52
; NumVGPRsForWavesPerEU: 24
; AccumOffset: 24
; Occupancy: 8
; WaveLimiterHint : 1
; COMPUTE_PGM_RSRC2:SCRATCH_EN: 0
; COMPUTE_PGM_RSRC2:USER_SGPR: 6
; COMPUTE_PGM_RSRC2:TRAP_HANDLER: 0
; COMPUTE_PGM_RSRC2:TGID_X_EN: 1
; COMPUTE_PGM_RSRC2:TGID_Y_EN: 0
; COMPUTE_PGM_RSRC2:TGID_Z_EN: 0
; COMPUTE_PGM_RSRC2:TIDIG_COMP_CNT: 0
; COMPUTE_PGM_RSRC3_GFX90A:ACCUM_OFFSET: 5
; COMPUTE_PGM_RSRC3_GFX90A:TG_SPLIT: 0
	.section	.text._ZN2at4cuda17kernelHistogram1DIdhlLi1ELi2ELin1ELNS0_23CUDAHistogramMemoryTypeE1EZNS0_21CUDA_tensor_histogramIdhLb1EEEbNS_6TensorES4_S4_lNS_14AccumulateTypeIT0_Lb1EE4typeES8_NS0_13TensorArgTypeES9_S9_EUllE0_EEvNS0_6detail10TensorInfoIT_T1_EESF_NSC_IKS6_SE_EElS8_S8_SE_T6_,"axG",@progbits,_ZN2at4cuda17kernelHistogram1DIdhlLi1ELi2ELin1ELNS0_23CUDAHistogramMemoryTypeE1EZNS0_21CUDA_tensor_histogramIdhLb1EEEbNS_6TensorES4_S4_lNS_14AccumulateTypeIT0_Lb1EE4typeES8_NS0_13TensorArgTypeES9_S9_EUllE0_EEvNS0_6detail10TensorInfoIT_T1_EESF_NSC_IKS6_SE_EElS8_S8_SE_T6_,comdat
	.protected	_ZN2at4cuda17kernelHistogram1DIdhlLi1ELi2ELin1ELNS0_23CUDAHistogramMemoryTypeE1EZNS0_21CUDA_tensor_histogramIdhLb1EEEbNS_6TensorES4_S4_lNS_14AccumulateTypeIT0_Lb1EE4typeES8_NS0_13TensorArgTypeES9_S9_EUllE0_EEvNS0_6detail10TensorInfoIT_T1_EESF_NSC_IKS6_SE_EElS8_S8_SE_T6_ ; -- Begin function _ZN2at4cuda17kernelHistogram1DIdhlLi1ELi2ELin1ELNS0_23CUDAHistogramMemoryTypeE1EZNS0_21CUDA_tensor_histogramIdhLb1EEEbNS_6TensorES4_S4_lNS_14AccumulateTypeIT0_Lb1EE4typeES8_NS0_13TensorArgTypeES9_S9_EUllE0_EEvNS0_6detail10TensorInfoIT_T1_EESF_NSC_IKS6_SE_EElS8_S8_SE_T6_
	.globl	_ZN2at4cuda17kernelHistogram1DIdhlLi1ELi2ELin1ELNS0_23CUDAHistogramMemoryTypeE1EZNS0_21CUDA_tensor_histogramIdhLb1EEEbNS_6TensorES4_S4_lNS_14AccumulateTypeIT0_Lb1EE4typeES8_NS0_13TensorArgTypeES9_S9_EUllE0_EEvNS0_6detail10TensorInfoIT_T1_EESF_NSC_IKS6_SE_EElS8_S8_SE_T6_
	.p2align	8
	.type	_ZN2at4cuda17kernelHistogram1DIdhlLi1ELi2ELin1ELNS0_23CUDAHistogramMemoryTypeE1EZNS0_21CUDA_tensor_histogramIdhLb1EEEbNS_6TensorES4_S4_lNS_14AccumulateTypeIT0_Lb1EE4typeES8_NS0_13TensorArgTypeES9_S9_EUllE0_EEvNS0_6detail10TensorInfoIT_T1_EESF_NSC_IKS6_SE_EElS8_S8_SE_T6_,@function
_ZN2at4cuda17kernelHistogram1DIdhlLi1ELi2ELin1ELNS0_23CUDAHistogramMemoryTypeE1EZNS0_21CUDA_tensor_histogramIdhLb1EEEbNS_6TensorES4_S4_lNS_14AccumulateTypeIT0_Lb1EE4typeES8_NS0_13TensorArgTypeES9_S9_EUllE0_EEvNS0_6detail10TensorInfoIT_T1_EESF_NSC_IKS6_SE_EElS8_S8_SE_T6_: ; @_ZN2at4cuda17kernelHistogram1DIdhlLi1ELi2ELin1ELNS0_23CUDAHistogramMemoryTypeE1EZNS0_21CUDA_tensor_histogramIdhLb1EEEbNS_6TensorES4_S4_lNS_14AccumulateTypeIT0_Lb1EE4typeES8_NS0_13TensorArgTypeES9_S9_EUllE0_EEvNS0_6detail10TensorInfoIT_T1_EESF_NSC_IKS6_SE_EElS8_S8_SE_T6_
; %bb.0:
	s_load_dword s2, s[4:5], 0x514
	s_load_dwordx8 s[8:15], s[4:5], 0x4e0
	s_add_u32 s0, s4, 0x508
	s_addc_u32 s1, s5, 0
	v_mov_b32_e32 v2, 0
	s_waitcnt lgkmcnt(0)
	s_and_b32 s2, s2, 0xffff
	s_mul_i32 s6, s6, s2
	v_add_u32_e32 v0, s6, v0
	v_mov_b32_e32 v1, v2
	v_cmp_gt_i64_e32 vcc, s[14:15], v[0:1]
	s_and_saveexec_b64 s[6:7], vcc
	s_cbranch_execz .LBB11_16
; %bb.1:
	s_load_dword s3, s[4:5], 0x4d8
	s_load_dwordx2 s[6:7], s[4:5], 0x0
	s_load_dwordx2 s[16:17], s[4:5], 0xd0
	s_load_dword s24, s[0:1], 0x0
	s_add_u32 s22, s4, 0x340
	s_addc_u32 s23, s5, 0
	s_mov_b32 s38, 0
	s_waitcnt lgkmcnt(0)
	s_cmp_gt_i32 s3, 1
	s_cselect_b64 s[0:1], -1, 0
	s_sub_u32 s33, s12, s10
	s_subb_u32 s36, s13, s11
	s_mul_i32 s37, s24, s2
	s_add_i32 s39, s3, 1
	s_add_i32 s2, s3, -1
	s_mov_b32 s3, s38
	s_load_dwordx2 s[18:19], s[4:5], 0x410
	s_load_dwordx2 s[20:21], s[4:5], 0x340
	s_lshl_b64 s[2:3], s[2:3], 3
	s_add_u32 s2, s2, s22
	s_addc_u32 s3, s3, s23
	s_add_u32 s4, s2, 8
	v_cndmask_b32_e64 v3, 0, 1, s[0:1]
	s_addc_u32 s5, s3, 0
	s_mov_b64 s[22:23], 0
	v_cmp_ne_u32_e64 s[0:1], 1, v3
	s_branch .LBB11_4
.LBB11_2:                               ;   in Loop: Header=BB11_4 Depth=1
	s_or_b64 exec, exec, s[2:3]
	v_ashrrev_i32_e32 v7, 31, v6
	v_cmp_eq_u64_e32 vcc, s[8:9], v[6:7]
	v_cndmask_b32_e64 v3, 0, 1, vcc
	v_sub_co_u32_e32 v3, vcc, v6, v3
	v_subbrev_co_u32_e32 v4, vcc, 0, v7, vcc
	v_mul_lo_u32 v6, v4, s16
	v_mul_lo_u32 v7, v3, s17
	v_mad_u64_u32 v[4:5], s[2:3], v3, s16, 0
	v_add3_u32 v5, v5, v7, v6
	v_lshlrev_b64 v[4:5], 3, v[4:5]
	v_mov_b32_e32 v3, s7
	v_add_co_u32_e32 v4, vcc, s6, v4
	v_mov_b32_e32 v6, 0
	v_addc_co_u32_e32 v5, vcc, v3, v5, vcc
	v_mov_b32_e32 v7, 0x3ff00000
	global_atomic_add_f64 v[4:5], v[6:7], off
.LBB11_3:                               ;   in Loop: Header=BB11_4 Depth=1
	s_or_b64 exec, exec, s[24:25]
	v_mov_b32_e32 v3, s38
	v_add_co_u32_e32 v0, vcc, s37, v0
	v_addc_co_u32_e32 v1, vcc, v1, v3, vcc
	v_cmp_le_i64_e32 vcc, s[14:15], v[0:1]
	s_or_b64 s[22:23], vcc, s[22:23]
	s_andn2_b64 exec, exec, s[22:23]
	s_cbranch_execz .LBB11_16
.LBB11_4:                               ; =>This Loop Header: Depth=1
                                        ;     Child Loop BB11_5 Depth 2
	s_and_b64 vcc, exec, s[0:1]
	v_pk_mov_b32 v[4:5], 0, 0
	s_mov_b64 s[24:25], s[4:5]
	s_mov_b32 s40, s39
	v_pk_mov_b32 v[6:7], v[0:1], v[0:1] op_sel:[0,1]
	v_pk_mov_b32 v[8:9], v[0:1], v[0:1] op_sel:[0,1]
	s_cbranch_vccnz .LBB11_11
.LBB11_5:                               ;   Parent Loop BB11_4 Depth=1
                                        ; =>  This Inner Loop Header: Depth=2
	s_load_dwordx2 s[26:27], s[24:25], 0x0
                                        ; implicit-def: $vgpr8_vgpr9
	s_waitcnt lgkmcnt(0)
	v_or_b32_e32 v3, s27, v7
	v_cmp_ne_u64_e32 vcc, 0, v[2:3]
	s_and_saveexec_b64 s[2:3], vcc
	s_xor_b64 s[28:29], exec, s[2:3]
	s_cbranch_execz .LBB11_7
; %bb.6:                                ;   in Loop: Header=BB11_5 Depth=2
	s_ashr_i32 s30, s27, 31
	s_add_u32 s2, s26, s30
	s_mov_b32 s31, s30
	s_addc_u32 s3, s27, s30
	s_xor_b64 s[34:35], s[2:3], s[30:31]
	v_cvt_f32_u32_e32 v3, s34
	v_cvt_f32_u32_e32 v8, s35
	s_sub_u32 s2, 0, s34
	s_subb_u32 s3, 0, s35
	v_mac_f32_e32 v3, 0x4f800000, v8
	v_rcp_f32_e32 v3, v3
	v_mul_f32_e32 v3, 0x5f7ffffc, v3
	v_mul_f32_e32 v8, 0x2f800000, v3
	v_trunc_f32_e32 v8, v8
	v_mac_f32_e32 v3, 0xcf800000, v8
	v_cvt_u32_f32_e32 v8, v8
	v_cvt_u32_f32_e32 v3, v3
	v_mul_lo_u32 v9, s2, v8
	v_mul_hi_u32 v11, s2, v3
	v_mul_lo_u32 v10, s3, v3
	v_add_u32_e32 v9, v11, v9
	v_mul_lo_u32 v12, s2, v3
	v_add_u32_e32 v9, v9, v10
	v_mul_lo_u32 v11, v3, v9
	v_mul_hi_u32 v13, v3, v12
	v_mul_hi_u32 v10, v3, v9
	v_add_co_u32_e32 v11, vcc, v13, v11
	v_addc_co_u32_e32 v10, vcc, 0, v10, vcc
	v_mul_hi_u32 v14, v8, v12
	v_mul_lo_u32 v12, v8, v12
	v_add_co_u32_e32 v11, vcc, v11, v12
	v_mul_hi_u32 v13, v8, v9
	v_addc_co_u32_e32 v10, vcc, v10, v14, vcc
	v_addc_co_u32_e32 v11, vcc, 0, v13, vcc
	v_mul_lo_u32 v9, v8, v9
	v_add_co_u32_e32 v9, vcc, v10, v9
	v_addc_co_u32_e32 v10, vcc, 0, v11, vcc
	v_add_co_u32_e32 v3, vcc, v3, v9
	v_addc_co_u32_e32 v8, vcc, v8, v10, vcc
	v_mul_lo_u32 v9, s2, v8
	v_mul_hi_u32 v10, s2, v3
	v_add_u32_e32 v9, v10, v9
	v_mul_lo_u32 v10, s3, v3
	v_add_u32_e32 v9, v9, v10
	v_mul_lo_u32 v11, s2, v3
	v_mul_hi_u32 v12, v8, v11
	v_mul_lo_u32 v13, v8, v11
	v_mul_lo_u32 v15, v3, v9
	v_mul_hi_u32 v11, v3, v11
	v_mul_hi_u32 v14, v3, v9
	v_add_co_u32_e32 v11, vcc, v11, v15
	v_addc_co_u32_e32 v14, vcc, 0, v14, vcc
	v_add_co_u32_e32 v11, vcc, v11, v13
	v_mul_hi_u32 v10, v8, v9
	v_addc_co_u32_e32 v11, vcc, v14, v12, vcc
	v_addc_co_u32_e32 v10, vcc, 0, v10, vcc
	v_mul_lo_u32 v9, v8, v9
	v_add_co_u32_e32 v9, vcc, v11, v9
	v_addc_co_u32_e32 v10, vcc, 0, v10, vcc
	v_add_co_u32_e32 v3, vcc, v3, v9
	v_addc_co_u32_e32 v10, vcc, v8, v10, vcc
	v_ashrrev_i32_e32 v12, 31, v7
	v_add_co_u32_e32 v8, vcc, v6, v12
	v_addc_co_u32_e32 v9, vcc, v7, v12, vcc
	v_xor_b32_e32 v14, v8, v12
	v_xor_b32_e32 v13, v9, v12
	v_mad_u64_u32 v[8:9], s[2:3], v14, v10, 0
	v_mul_hi_u32 v11, v14, v3
	v_add_co_u32_e32 v15, vcc, v11, v8
	v_addc_co_u32_e32 v16, vcc, 0, v9, vcc
	v_mad_u64_u32 v[8:9], s[2:3], v13, v10, 0
	v_mad_u64_u32 v[10:11], s[2:3], v13, v3, 0
	v_add_co_u32_e32 v3, vcc, v15, v10
	v_addc_co_u32_e32 v3, vcc, v16, v11, vcc
	v_addc_co_u32_e32 v9, vcc, 0, v9, vcc
	v_add_co_u32_e32 v3, vcc, v3, v8
	v_addc_co_u32_e32 v10, vcc, 0, v9, vcc
	v_mul_lo_u32 v11, s35, v3
	v_mul_lo_u32 v15, s34, v10
	v_mad_u64_u32 v[8:9], s[2:3], s34, v3, 0
	v_add3_u32 v9, v9, v15, v11
	v_sub_u32_e32 v11, v13, v9
	v_mov_b32_e32 v15, s35
	v_sub_co_u32_e32 v8, vcc, v14, v8
	v_subb_co_u32_e64 v11, s[2:3], v11, v15, vcc
	v_subrev_co_u32_e64 v14, s[2:3], s34, v8
	v_subbrev_co_u32_e64 v11, s[2:3], 0, v11, s[2:3]
	v_cmp_le_u32_e64 s[2:3], s35, v11
	v_cndmask_b32_e64 v15, 0, -1, s[2:3]
	v_cmp_le_u32_e64 s[2:3], s34, v14
	v_cndmask_b32_e64 v14, 0, -1, s[2:3]
	v_cmp_eq_u32_e64 s[2:3], s35, v11
	v_cndmask_b32_e64 v11, v15, v14, s[2:3]
	v_add_co_u32_e64 v14, s[2:3], 2, v3
	v_subb_co_u32_e32 v9, vcc, v13, v9, vcc
	v_addc_co_u32_e64 v15, s[2:3], 0, v10, s[2:3]
	v_cmp_le_u32_e32 vcc, s35, v9
	v_add_co_u32_e64 v16, s[2:3], 1, v3
	v_cndmask_b32_e64 v13, 0, -1, vcc
	v_cmp_le_u32_e32 vcc, s34, v8
	v_addc_co_u32_e64 v17, s[2:3], 0, v10, s[2:3]
	v_cndmask_b32_e64 v8, 0, -1, vcc
	v_cmp_eq_u32_e32 vcc, s35, v9
	v_cmp_ne_u32_e64 s[2:3], 0, v11
	v_cndmask_b32_e32 v8, v13, v8, vcc
	v_cmp_ne_u32_e32 vcc, 0, v8
	v_cndmask_b32_e64 v9, v16, v14, s[2:3]
	v_cndmask_b32_e64 v11, v17, v15, s[2:3]
	v_cndmask_b32_e32 v3, v3, v9, vcc
	v_xor_b32_e32 v9, s30, v12
	v_cndmask_b32_e32 v8, v10, v11, vcc
	v_xor_b32_e32 v3, v3, v9
	v_xor_b32_e32 v10, v8, v9
	v_sub_co_u32_e32 v8, vcc, v3, v9
	v_subb_co_u32_e32 v9, vcc, v10, v9, vcc
.LBB11_7:                               ;   in Loop: Header=BB11_5 Depth=2
	s_andn2_saveexec_b64 s[2:3], s[28:29]
	s_cbranch_execz .LBB11_9
; %bb.8:                                ;   in Loop: Header=BB11_5 Depth=2
	v_cvt_f32_u32_e32 v3, s26
	s_sub_i32 s28, 0, s26
	v_rcp_iflag_f32_e32 v3, v3
	v_mul_f32_e32 v3, 0x4f7ffffe, v3
	v_cvt_u32_f32_e32 v3, v3
	v_mul_lo_u32 v8, s28, v3
	v_mul_hi_u32 v8, v3, v8
	v_add_u32_e32 v3, v3, v8
	v_mul_hi_u32 v3, v6, v3
	v_mul_lo_u32 v8, v3, s26
	v_sub_u32_e32 v8, v6, v8
	v_add_u32_e32 v9, 1, v3
	v_subrev_u32_e32 v10, s26, v8
	v_cmp_le_u32_e32 vcc, s26, v8
	v_cndmask_b32_e32 v8, v8, v10, vcc
	v_cndmask_b32_e32 v3, v3, v9, vcc
	v_add_u32_e32 v9, 1, v3
	v_cmp_le_u32_e32 vcc, s26, v8
	v_cndmask_b32_e32 v8, v3, v9, vcc
	v_mov_b32_e32 v9, v2
.LBB11_9:                               ;   in Loop: Header=BB11_5 Depth=2
	s_or_b64 exec, exec, s[2:3]
	v_mad_u64_u32 v[10:11], s[2:3], v8, s26, 0
	s_load_dwordx2 s[2:3], s[24:25], 0xc8
	v_mul_lo_u32 v3, v9, s26
	v_mul_lo_u32 v12, v8, s27
	v_add3_u32 v3, v11, v12, v3
	v_sub_co_u32_e32 v6, vcc, v6, v10
	s_add_i32 s40, s40, -1
	v_subb_co_u32_e32 v3, vcc, v7, v3, vcc
	s_add_u32 s24, s24, -8
	s_waitcnt lgkmcnt(0)
	v_mul_lo_u32 v3, s2, v3
	v_mul_lo_u32 v7, s3, v6
	v_mad_u64_u32 v[4:5], s[2:3], s2, v6, v[4:5]
	s_addc_u32 s25, s25, -1
	s_cmp_gt_u32 s40, 2
	v_add3_u32 v5, v7, v5, v3
	s_cbranch_scc0 .LBB11_11
; %bb.10:                               ;   in Loop: Header=BB11_5 Depth=2
	v_pk_mov_b32 v[6:7], v[8:9], v[8:9] op_sel:[0,1]
	s_branch .LBB11_5
.LBB11_11:                              ;   in Loop: Header=BB11_4 Depth=1
	s_waitcnt lgkmcnt(0)
	v_pk_mov_b32 v[6:7], s[20:21], s[20:21] op_sel:[0,1]
	v_mad_u64_u32 v[6:7], s[2:3], s18, v8, v[6:7]
	v_mul_lo_u32 v3, s18, v9
	v_mul_lo_u32 v8, s19, v8
	v_add3_u32 v3, v8, v7, v3
	v_add_co_u32_e32 v4, vcc, v6, v4
	v_addc_co_u32_e32 v5, vcc, v3, v5, vcc
	global_load_ubyte v3, v[4:5], off
	v_mov_b32_e32 v5, s38
	s_waitcnt vmcnt(0)
	v_and_b32_e32 v4, 0xffff, v3
	v_cmp_le_i64_e32 vcc, s[10:11], v[4:5]
	v_cmp_ge_i64_e64 s[2:3], s[12:13], v[4:5]
	s_and_b64 s[2:3], vcc, s[2:3]
	s_and_saveexec_b64 s[24:25], s[2:3]
	s_cbranch_execz .LBB11_3
; %bb.12:                               ;   in Loop: Header=BB11_4 Depth=1
	v_mov_b32_e32 v3, s11
	v_subrev_co_u32_e32 v4, vcc, s10, v4
	v_subb_co_u32_e32 v3, vcc, 0, v3, vcc
	v_mul_lo_u32 v3, v3, s8
	v_mul_lo_u32 v6, v4, s9
	v_mad_u64_u32 v[4:5], s[2:3], v4, s8, 0
	v_add3_u32 v5, v5, v6, v3
	v_or_b32_e32 v3, s36, v5
	v_cmp_ne_u64_e32 vcc, 0, v[2:3]
                                        ; implicit-def: $vgpr6_vgpr7
	s_and_saveexec_b64 s[2:3], vcc
	s_xor_b64 s[26:27], exec, s[2:3]
	s_cbranch_execz .LBB11_14
; %bb.13:                               ;   in Loop: Header=BB11_4 Depth=1
	s_ashr_i32 s28, s36, 31
	s_add_u32 s2, s33, s28
	s_mov_b32 s29, s28
	s_addc_u32 s3, s36, s28
	s_xor_b64 s[30:31], s[2:3], s[28:29]
	v_cvt_f32_u32_e32 v3, s30
	v_cvt_f32_u32_e32 v6, s31
	s_sub_u32 s2, 0, s30
	s_subb_u32 s3, 0, s31
	v_mac_f32_e32 v3, 0x4f800000, v6
	v_rcp_f32_e32 v3, v3
	v_mul_f32_e32 v3, 0x5f7ffffc, v3
	v_mul_f32_e32 v6, 0x2f800000, v3
	v_trunc_f32_e32 v6, v6
	v_mac_f32_e32 v3, 0xcf800000, v6
	v_cvt_u32_f32_e32 v6, v6
	v_cvt_u32_f32_e32 v3, v3
	v_mul_lo_u32 v7, s2, v6
	v_mul_hi_u32 v9, s2, v3
	v_mul_lo_u32 v8, s3, v3
	v_add_u32_e32 v7, v9, v7
	v_mul_lo_u32 v10, s2, v3
	v_add_u32_e32 v7, v7, v8
	v_mul_lo_u32 v9, v3, v7
	v_mul_hi_u32 v11, v3, v10
	v_mul_hi_u32 v8, v3, v7
	v_add_co_u32_e32 v9, vcc, v11, v9
	v_addc_co_u32_e32 v8, vcc, 0, v8, vcc
	v_mul_hi_u32 v12, v6, v10
	v_mul_lo_u32 v10, v6, v10
	v_add_co_u32_e32 v9, vcc, v9, v10
	v_mul_hi_u32 v11, v6, v7
	v_addc_co_u32_e32 v8, vcc, v8, v12, vcc
	v_addc_co_u32_e32 v9, vcc, 0, v11, vcc
	v_mul_lo_u32 v7, v6, v7
	v_add_co_u32_e32 v7, vcc, v8, v7
	v_addc_co_u32_e32 v8, vcc, 0, v9, vcc
	v_add_co_u32_e32 v3, vcc, v3, v7
	v_addc_co_u32_e32 v6, vcc, v6, v8, vcc
	v_mul_lo_u32 v7, s2, v6
	v_mul_hi_u32 v8, s2, v3
	v_add_u32_e32 v7, v8, v7
	v_mul_lo_u32 v8, s3, v3
	v_add_u32_e32 v7, v7, v8
	v_mul_lo_u32 v9, s2, v3
	v_mul_hi_u32 v10, v6, v9
	v_mul_lo_u32 v11, v6, v9
	v_mul_lo_u32 v13, v3, v7
	v_mul_hi_u32 v9, v3, v9
	v_mul_hi_u32 v12, v3, v7
	v_add_co_u32_e32 v9, vcc, v9, v13
	v_addc_co_u32_e32 v12, vcc, 0, v12, vcc
	v_add_co_u32_e32 v9, vcc, v9, v11
	v_mul_hi_u32 v8, v6, v7
	v_addc_co_u32_e32 v9, vcc, v12, v10, vcc
	v_addc_co_u32_e32 v8, vcc, 0, v8, vcc
	v_mul_lo_u32 v7, v6, v7
	v_add_co_u32_e32 v7, vcc, v9, v7
	v_addc_co_u32_e32 v8, vcc, 0, v8, vcc
	v_add_co_u32_e32 v3, vcc, v3, v7
	v_addc_co_u32_e32 v6, vcc, v6, v8, vcc
	v_ashrrev_i32_e32 v8, 31, v5
	v_add_co_u32_e32 v4, vcc, v4, v8
	v_addc_co_u32_e32 v5, vcc, v5, v8, vcc
	v_xor_b32_e32 v10, v4, v8
	v_xor_b32_e32 v9, v5, v8
	v_mad_u64_u32 v[4:5], s[2:3], v10, v6, 0
	v_mul_hi_u32 v7, v10, v3
	v_add_co_u32_e32 v11, vcc, v7, v4
	v_addc_co_u32_e32 v12, vcc, 0, v5, vcc
	v_mad_u64_u32 v[4:5], s[2:3], v9, v6, 0
	v_mad_u64_u32 v[6:7], s[2:3], v9, v3, 0
	v_add_co_u32_e32 v3, vcc, v11, v6
	v_addc_co_u32_e32 v3, vcc, v12, v7, vcc
	v_addc_co_u32_e32 v5, vcc, 0, v5, vcc
	v_add_co_u32_e32 v3, vcc, v3, v4
	v_addc_co_u32_e32 v4, vcc, 0, v5, vcc
	v_mul_lo_u32 v6, s31, v3
	v_mul_lo_u32 v7, s30, v4
	v_mad_u64_u32 v[4:5], s[2:3], s30, v3, 0
	v_add3_u32 v5, v5, v7, v6
	v_sub_u32_e32 v6, v9, v5
	v_mov_b32_e32 v7, s31
	v_sub_co_u32_e32 v4, vcc, v10, v4
	v_subb_co_u32_e64 v6, s[2:3], v6, v7, vcc
	v_subrev_co_u32_e64 v7, s[2:3], s30, v4
	v_subbrev_co_u32_e64 v6, s[2:3], 0, v6, s[2:3]
	v_cmp_le_u32_e64 s[2:3], s31, v6
	v_subb_co_u32_e32 v5, vcc, v9, v5, vcc
	v_cndmask_b32_e64 v10, 0, -1, s[2:3]
	v_cmp_le_u32_e64 s[2:3], s30, v7
	v_cmp_le_u32_e32 vcc, s31, v5
	v_cndmask_b32_e64 v7, 0, -1, s[2:3]
	v_cmp_eq_u32_e64 s[2:3], s31, v6
	v_cndmask_b32_e64 v9, 0, -1, vcc
	v_cmp_le_u32_e32 vcc, s30, v4
	v_cndmask_b32_e64 v6, v10, v7, s[2:3]
	v_cndmask_b32_e64 v4, 0, -1, vcc
	v_cmp_eq_u32_e32 vcc, s31, v5
	v_add_co_u32_e64 v7, s[2:3], 2, v3
	v_add_co_u32_e64 v10, s[2:3], 1, v3
	v_cndmask_b32_e32 v4, v9, v4, vcc
	v_cmp_ne_u32_e32 vcc, 0, v6
	v_cndmask_b32_e32 v5, v10, v7, vcc
	v_cmp_ne_u32_e32 vcc, 0, v4
	v_cndmask_b32_e32 v3, v3, v5, vcc
	v_xor_b32_e32 v4, s28, v8
	v_xor_b32_e32 v3, v3, v4
	v_sub_co_u32_e32 v6, vcc, v3, v4
                                        ; implicit-def: $vgpr4_vgpr5
.LBB11_14:                              ;   in Loop: Header=BB11_4 Depth=1
	s_andn2_saveexec_b64 s[2:3], s[26:27]
	s_cbranch_execz .LBB11_2
; %bb.15:                               ;   in Loop: Header=BB11_4 Depth=1
	v_cvt_f32_u32_e32 v3, s33
	s_sub_i32 s26, 0, s33
	v_rcp_iflag_f32_e32 v3, v3
	v_mul_f32_e32 v3, 0x4f7ffffe, v3
	v_cvt_u32_f32_e32 v3, v3
	v_mul_lo_u32 v5, s26, v3
	v_mul_hi_u32 v5, v3, v5
	v_add_u32_e32 v3, v3, v5
	v_mul_hi_u32 v3, v4, v3
	v_mul_lo_u32 v5, v3, s33
	v_sub_u32_e32 v4, v4, v5
	v_add_u32_e32 v6, 1, v3
	v_subrev_u32_e32 v5, s33, v4
	v_cmp_le_u32_e32 vcc, s33, v4
	v_cndmask_b32_e32 v4, v4, v5, vcc
	v_cndmask_b32_e32 v3, v3, v6, vcc
	v_add_u32_e32 v5, 1, v3
	v_cmp_le_u32_e32 vcc, s33, v4
	v_cndmask_b32_e32 v6, v3, v5, vcc
	s_branch .LBB11_2
.LBB11_16:
	s_endpgm
	.section	.rodata,"a",@progbits
	.p2align	6, 0x0
	.amdhsa_kernel _ZN2at4cuda17kernelHistogram1DIdhlLi1ELi2ELin1ELNS0_23CUDAHistogramMemoryTypeE1EZNS0_21CUDA_tensor_histogramIdhLb1EEEbNS_6TensorES4_S4_lNS_14AccumulateTypeIT0_Lb1EE4typeES8_NS0_13TensorArgTypeES9_S9_EUllE0_EEvNS0_6detail10TensorInfoIT_T1_EESF_NSC_IKS6_SE_EElS8_S8_SE_T6_
		.amdhsa_group_segment_fixed_size 0
		.amdhsa_private_segment_fixed_size 0
		.amdhsa_kernarg_size 1544
		.amdhsa_user_sgpr_count 6
		.amdhsa_user_sgpr_private_segment_buffer 1
		.amdhsa_user_sgpr_dispatch_ptr 0
		.amdhsa_user_sgpr_queue_ptr 0
		.amdhsa_user_sgpr_kernarg_segment_ptr 1
		.amdhsa_user_sgpr_dispatch_id 0
		.amdhsa_user_sgpr_flat_scratch_init 0
		.amdhsa_user_sgpr_kernarg_preload_length 0
		.amdhsa_user_sgpr_kernarg_preload_offset 0
		.amdhsa_user_sgpr_private_segment_size 0
		.amdhsa_uses_dynamic_stack 0
		.amdhsa_system_sgpr_private_segment_wavefront_offset 0
		.amdhsa_system_sgpr_workgroup_id_x 1
		.amdhsa_system_sgpr_workgroup_id_y 0
		.amdhsa_system_sgpr_workgroup_id_z 0
		.amdhsa_system_sgpr_workgroup_info 0
		.amdhsa_system_vgpr_workitem_id 0
		.amdhsa_next_free_vgpr 18
		.amdhsa_next_free_sgpr 41
		.amdhsa_accum_offset 20
		.amdhsa_reserve_vcc 1
		.amdhsa_reserve_flat_scratch 0
		.amdhsa_float_round_mode_32 0
		.amdhsa_float_round_mode_16_64 0
		.amdhsa_float_denorm_mode_32 3
		.amdhsa_float_denorm_mode_16_64 3
		.amdhsa_dx10_clamp 1
		.amdhsa_ieee_mode 1
		.amdhsa_fp16_overflow 0
		.amdhsa_tg_split 0
		.amdhsa_exception_fp_ieee_invalid_op 0
		.amdhsa_exception_fp_denorm_src 0
		.amdhsa_exception_fp_ieee_div_zero 0
		.amdhsa_exception_fp_ieee_overflow 0
		.amdhsa_exception_fp_ieee_underflow 0
		.amdhsa_exception_fp_ieee_inexact 0
		.amdhsa_exception_int_div_zero 0
	.end_amdhsa_kernel
	.section	.text._ZN2at4cuda17kernelHistogram1DIdhlLi1ELi2ELin1ELNS0_23CUDAHistogramMemoryTypeE1EZNS0_21CUDA_tensor_histogramIdhLb1EEEbNS_6TensorES4_S4_lNS_14AccumulateTypeIT0_Lb1EE4typeES8_NS0_13TensorArgTypeES9_S9_EUllE0_EEvNS0_6detail10TensorInfoIT_T1_EESF_NSC_IKS6_SE_EElS8_S8_SE_T6_,"axG",@progbits,_ZN2at4cuda17kernelHistogram1DIdhlLi1ELi2ELin1ELNS0_23CUDAHistogramMemoryTypeE1EZNS0_21CUDA_tensor_histogramIdhLb1EEEbNS_6TensorES4_S4_lNS_14AccumulateTypeIT0_Lb1EE4typeES8_NS0_13TensorArgTypeES9_S9_EUllE0_EEvNS0_6detail10TensorInfoIT_T1_EESF_NSC_IKS6_SE_EElS8_S8_SE_T6_,comdat
.Lfunc_end11:
	.size	_ZN2at4cuda17kernelHistogram1DIdhlLi1ELi2ELin1ELNS0_23CUDAHistogramMemoryTypeE1EZNS0_21CUDA_tensor_histogramIdhLb1EEEbNS_6TensorES4_S4_lNS_14AccumulateTypeIT0_Lb1EE4typeES8_NS0_13TensorArgTypeES9_S9_EUllE0_EEvNS0_6detail10TensorInfoIT_T1_EESF_NSC_IKS6_SE_EElS8_S8_SE_T6_, .Lfunc_end11-_ZN2at4cuda17kernelHistogram1DIdhlLi1ELi2ELin1ELNS0_23CUDAHistogramMemoryTypeE1EZNS0_21CUDA_tensor_histogramIdhLb1EEEbNS_6TensorES4_S4_lNS_14AccumulateTypeIT0_Lb1EE4typeES8_NS0_13TensorArgTypeES9_S9_EUllE0_EEvNS0_6detail10TensorInfoIT_T1_EESF_NSC_IKS6_SE_EElS8_S8_SE_T6_
                                        ; -- End function
	.section	.AMDGPU.csdata,"",@progbits
; Kernel info:
; codeLenInByte = 2212
; NumSgprs: 45
; NumVgprs: 18
; NumAgprs: 0
; TotalNumVgprs: 18
; ScratchSize: 0
; MemoryBound: 0
; FloatMode: 240
; IeeeMode: 1
; LDSByteSize: 0 bytes/workgroup (compile time only)
; SGPRBlocks: 5
; VGPRBlocks: 2
; NumSGPRsForWavesPerEU: 45
; NumVGPRsForWavesPerEU: 18
; AccumOffset: 20
; Occupancy: 8
; WaveLimiterHint : 1
; COMPUTE_PGM_RSRC2:SCRATCH_EN: 0
; COMPUTE_PGM_RSRC2:USER_SGPR: 6
; COMPUTE_PGM_RSRC2:TRAP_HANDLER: 0
; COMPUTE_PGM_RSRC2:TGID_X_EN: 1
; COMPUTE_PGM_RSRC2:TGID_Y_EN: 0
; COMPUTE_PGM_RSRC2:TGID_Z_EN: 0
; COMPUTE_PGM_RSRC2:TIDIG_COMP_CNT: 0
; COMPUTE_PGM_RSRC3_GFX90A:ACCUM_OFFSET: 4
; COMPUTE_PGM_RSRC3_GFX90A:TG_SPLIT: 0
	.section	.text._ZN2at4cuda17kernelHistogram1DIfalLi1ELi2ELin1ELNS0_23CUDAHistogramMemoryTypeE0EZNS0_21CUDA_tensor_histogramIfaLb1EEEbNS_6TensorES4_S4_lNS_14AccumulateTypeIT0_Lb1EE4typeES8_NS0_13TensorArgTypeES9_S9_EUllE_EEvNS0_6detail10TensorInfoIT_T1_EESF_NSC_IKS6_SE_EElS8_S8_SE_T6_,"axG",@progbits,_ZN2at4cuda17kernelHistogram1DIfalLi1ELi2ELin1ELNS0_23CUDAHistogramMemoryTypeE0EZNS0_21CUDA_tensor_histogramIfaLb1EEEbNS_6TensorES4_S4_lNS_14AccumulateTypeIT0_Lb1EE4typeES8_NS0_13TensorArgTypeES9_S9_EUllE_EEvNS0_6detail10TensorInfoIT_T1_EESF_NSC_IKS6_SE_EElS8_S8_SE_T6_,comdat
	.protected	_ZN2at4cuda17kernelHistogram1DIfalLi1ELi2ELin1ELNS0_23CUDAHistogramMemoryTypeE0EZNS0_21CUDA_tensor_histogramIfaLb1EEEbNS_6TensorES4_S4_lNS_14AccumulateTypeIT0_Lb1EE4typeES8_NS0_13TensorArgTypeES9_S9_EUllE_EEvNS0_6detail10TensorInfoIT_T1_EESF_NSC_IKS6_SE_EElS8_S8_SE_T6_ ; -- Begin function _ZN2at4cuda17kernelHistogram1DIfalLi1ELi2ELin1ELNS0_23CUDAHistogramMemoryTypeE0EZNS0_21CUDA_tensor_histogramIfaLb1EEEbNS_6TensorES4_S4_lNS_14AccumulateTypeIT0_Lb1EE4typeES8_NS0_13TensorArgTypeES9_S9_EUllE_EEvNS0_6detail10TensorInfoIT_T1_EESF_NSC_IKS6_SE_EElS8_S8_SE_T6_
	.globl	_ZN2at4cuda17kernelHistogram1DIfalLi1ELi2ELin1ELNS0_23CUDAHistogramMemoryTypeE0EZNS0_21CUDA_tensor_histogramIfaLb1EEEbNS_6TensorES4_S4_lNS_14AccumulateTypeIT0_Lb1EE4typeES8_NS0_13TensorArgTypeES9_S9_EUllE_EEvNS0_6detail10TensorInfoIT_T1_EESF_NSC_IKS6_SE_EElS8_S8_SE_T6_
	.p2align	8
	.type	_ZN2at4cuda17kernelHistogram1DIfalLi1ELi2ELin1ELNS0_23CUDAHistogramMemoryTypeE0EZNS0_21CUDA_tensor_histogramIfaLb1EEEbNS_6TensorES4_S4_lNS_14AccumulateTypeIT0_Lb1EE4typeES8_NS0_13TensorArgTypeES9_S9_EUllE_EEvNS0_6detail10TensorInfoIT_T1_EESF_NSC_IKS6_SE_EElS8_S8_SE_T6_,@function
_ZN2at4cuda17kernelHistogram1DIfalLi1ELi2ELin1ELNS0_23CUDAHistogramMemoryTypeE0EZNS0_21CUDA_tensor_histogramIfaLb1EEEbNS_6TensorES4_S4_lNS_14AccumulateTypeIT0_Lb1EE4typeES8_NS0_13TensorArgTypeES9_S9_EUllE_EEvNS0_6detail10TensorInfoIT_T1_EESF_NSC_IKS6_SE_EElS8_S8_SE_T6_: ; @_ZN2at4cuda17kernelHistogram1DIfalLi1ELi2ELin1ELNS0_23CUDAHistogramMemoryTypeE0EZNS0_21CUDA_tensor_histogramIfaLb1EEEbNS_6TensorES4_S4_lNS_14AccumulateTypeIT0_Lb1EE4typeES8_NS0_13TensorArgTypeES9_S9_EUllE_EEvNS0_6detail10TensorInfoIT_T1_EESF_NSC_IKS6_SE_EElS8_S8_SE_T6_
; %bb.0:
	s_load_dwordx4 s[16:19], s[4:5], 0x0
	s_load_dwordx2 s[22:23], s[4:5], 0x500
	s_load_dwordx8 s[8:15], s[4:5], 0x4e0
	v_mov_b32_e32 v1, 0
	s_add_u32 s26, s4, 0x6a0
	s_waitcnt lgkmcnt(0)
	v_cmp_gt_i64_e64 s[0:1], s[18:19], v[0:1]
	v_cmp_le_i64_e32 vcc, s[18:19], v[0:1]
	s_addc_u32 s27, s5, 0
                                        ; implicit-def: $sgpr7
	s_and_saveexec_b64 s[2:3], vcc
	s_xor_b64 s[2:3], exec, s[2:3]
	s_cbranch_execz .LBB12_2
; %bb.1:
	s_load_dword s7, s[26:27], 0xc
.LBB12_2:
	s_or_saveexec_b64 s[28:29], s[2:3]
	s_load_dwordx2 s[20:21], s[4:5], 0xd0
	s_load_dwordx2 s[24:25], s[4:5], 0x5d0
	s_waitcnt lgkmcnt(0)
	v_mov_b32_e32 v4, s7
	s_xor_b64 exec, exec, s[28:29]
	s_cbranch_execz .LBB12_16
; %bb.3:
	s_load_dword s7, s[26:27], 0xc
	v_mov_b32_e32 v2, s19
	s_mov_b32 s34, 0
	s_waitcnt lgkmcnt(0)
	s_and_b32 s33, s7, 0xffff
	v_add_co_u32_e32 v4, vcc, s33, v0
	v_addc_co_u32_e64 v5, s[2:3], 0, 0, vcc
	v_cmp_gt_i64_e32 vcc, s[18:19], v[4:5]
	v_cndmask_b32_e32 v6, v5, v2, vcc
	v_mov_b32_e32 v2, s18
	v_cndmask_b32_e32 v3, v4, v2, vcc
	v_cndmask_b32_e64 v2, 0, 1, vcc
	v_add_co_u32_e32 v4, vcc, v4, v2
	v_addc_co_u32_e32 v5, vcc, 0, v5, vcc
	v_sub_co_u32_e32 v3, vcc, v3, v4
	v_subb_co_u32_e32 v5, vcc, v6, v5, vcc
	v_mov_b32_e32 v4, 0
	v_cmp_ne_u64_e32 vcc, 0, v[4:5]
                                        ; implicit-def: $vgpr6_vgpr7
	s_and_saveexec_b64 s[2:3], vcc
	s_xor_b64 s[30:31], exec, s[2:3]
	s_cbranch_execz .LBB12_5
; %bb.4:
	v_cvt_f32_u32_e32 v4, s33
	v_mov_b32_e32 v6, 0x4f800000
	s_sub_u32 s2, 0, s33
	s_subb_u32 s3, 0, 0
	v_mac_f32_e32 v4, 0, v6
	v_rcp_f32_e32 v4, v4
	v_mul_f32_e32 v4, 0x5f7ffffc, v4
	v_mul_f32_e32 v6, 0x2f800000, v4
	v_trunc_f32_e32 v6, v6
	v_madmk_f32 v4, v6, 0xcf800000, v4
	v_cvt_u32_f32_e32 v6, v6
	v_cvt_u32_f32_e32 v4, v4
	v_mul_lo_u32 v7, s2, v6
	v_mul_hi_u32 v9, s2, v4
	v_mul_lo_u32 v8, s3, v4
	v_add_u32_e32 v7, v9, v7
	v_mul_lo_u32 v10, s2, v4
	v_add_u32_e32 v7, v7, v8
	v_mul_hi_u32 v9, v4, v10
	v_mul_lo_u32 v11, v4, v7
	v_mul_hi_u32 v8, v4, v7
	v_add_co_u32_e32 v9, vcc, v9, v11
	v_addc_co_u32_e32 v8, vcc, 0, v8, vcc
	v_mul_hi_u32 v12, v6, v10
	v_mul_lo_u32 v10, v6, v10
	v_add_co_u32_e32 v9, vcc, v9, v10
	v_mul_hi_u32 v11, v6, v7
	v_addc_co_u32_e32 v8, vcc, v8, v12, vcc
	v_addc_co_u32_e32 v9, vcc, 0, v11, vcc
	v_mul_lo_u32 v7, v6, v7
	v_add_co_u32_e32 v7, vcc, v8, v7
	v_addc_co_u32_e32 v8, vcc, 0, v9, vcc
	v_add_co_u32_e32 v4, vcc, v4, v7
	v_addc_co_u32_e32 v6, vcc, v6, v8, vcc
	v_mul_lo_u32 v7, s2, v6
	v_mul_hi_u32 v8, s2, v4
	v_add_u32_e32 v7, v8, v7
	v_mul_lo_u32 v8, s3, v4
	v_add_u32_e32 v7, v7, v8
	v_mul_lo_u32 v9, s2, v4
	v_mul_hi_u32 v10, v6, v9
	v_mul_lo_u32 v11, v6, v9
	v_mul_lo_u32 v13, v4, v7
	v_mul_hi_u32 v9, v4, v9
	v_mul_hi_u32 v12, v4, v7
	v_add_co_u32_e32 v9, vcc, v9, v13
	v_addc_co_u32_e32 v12, vcc, 0, v12, vcc
	v_add_co_u32_e32 v9, vcc, v9, v11
	v_mul_hi_u32 v8, v6, v7
	v_addc_co_u32_e32 v9, vcc, v12, v10, vcc
	v_addc_co_u32_e32 v8, vcc, 0, v8, vcc
	v_mul_lo_u32 v7, v6, v7
	v_add_co_u32_e32 v7, vcc, v9, v7
	v_addc_co_u32_e32 v8, vcc, 0, v8, vcc
	v_add_co_u32_e32 v4, vcc, v4, v7
	v_addc_co_u32_e32 v8, vcc, v6, v8, vcc
	v_mad_u64_u32 v[6:7], s[2:3], v3, v8, 0
	v_mul_hi_u32 v9, v3, v4
	v_add_co_u32_e32 v10, vcc, v9, v6
	v_addc_co_u32_e32 v11, vcc, 0, v7, vcc
	v_mad_u64_u32 v[6:7], s[2:3], v5, v8, 0
	v_mad_u64_u32 v[8:9], s[2:3], v5, v4, 0
	v_add_co_u32_e32 v4, vcc, v10, v8
	v_addc_co_u32_e32 v4, vcc, v11, v9, vcc
	v_addc_co_u32_e32 v7, vcc, 0, v7, vcc
	v_add_co_u32_e32 v10, vcc, v4, v6
	v_addc_co_u32_e32 v11, vcc, 0, v7, vcc
	v_mad_u64_u32 v[6:7], s[2:3], s33, v10, 0
	v_mov_b32_e32 v4, v7
	v_mad_u64_u32 v[8:9], s[2:3], s33, v11, v[4:5]
	v_sub_co_u32_e32 v3, vcc, v3, v6
	v_subb_co_u32_e32 v4, vcc, v5, v8, vcc
	v_subrev_co_u32_e32 v5, vcc, s33, v3
	v_subbrev_co_u32_e32 v6, vcc, 0, v4, vcc
	v_cmp_le_u32_e32 vcc, s33, v5
	v_cndmask_b32_e64 v5, 0, -1, vcc
	v_cmp_eq_u32_e32 vcc, 0, v6
	v_cndmask_b32_e32 v5, -1, v5, vcc
	v_add_co_u32_e32 v6, vcc, 2, v10
	v_addc_co_u32_e32 v7, vcc, 0, v11, vcc
	v_add_co_u32_e32 v8, vcc, 1, v10
	v_cmp_le_u32_e64 s[2:3], s33, v3
	v_addc_co_u32_e32 v9, vcc, 0, v11, vcc
	v_cndmask_b32_e64 v3, 0, -1, s[2:3]
	v_cmp_eq_u32_e64 s[2:3], 0, v4
	v_cmp_ne_u32_e32 vcc, 0, v5
	v_cndmask_b32_e64 v3, -1, v3, s[2:3]
	v_cndmask_b32_e32 v5, v9, v7, vcc
	v_cmp_ne_u32_e64 s[2:3], 0, v3
	v_cndmask_b32_e32 v3, v8, v6, vcc
	v_cndmask_b32_e64 v7, v11, v5, s[2:3]
	v_cndmask_b32_e64 v6, v10, v3, s[2:3]
                                        ; implicit-def: $vgpr3
.LBB12_5:
	s_andn2_saveexec_b64 s[2:3], s[30:31]
	s_cbranch_execz .LBB12_7
; %bb.6:
	v_cvt_f32_u32_e32 v4, s33
	s_sub_i32 s30, 0, s33
	v_mov_b32_e32 v7, 0
	v_rcp_iflag_f32_e32 v4, v4
	v_mul_f32_e32 v4, 0x4f7ffffe, v4
	v_cvt_u32_f32_e32 v4, v4
	v_mul_lo_u32 v5, s30, v4
	v_mul_hi_u32 v5, v4, v5
	v_add_u32_e32 v4, v4, v5
	v_mul_hi_u32 v4, v3, v4
	v_mul_lo_u32 v5, v4, s33
	v_sub_u32_e32 v3, v3, v5
	v_add_u32_e32 v6, 1, v4
	v_subrev_u32_e32 v5, s33, v3
	v_cmp_le_u32_e32 vcc, s33, v3
	v_cndmask_b32_e32 v3, v3, v5, vcc
	v_cndmask_b32_e32 v4, v4, v6, vcc
	v_add_u32_e32 v5, 1, v4
	v_cmp_le_u32_e32 vcc, s33, v3
	v_cndmask_b32_e32 v6, v4, v5, vcc
.LBB12_7:
	s_or_b64 exec, exec, s[2:3]
	v_add_co_u32_e32 v2, vcc, v6, v2
	v_addc_co_u32_e32 v3, vcc, 0, v7, vcc
	v_add_co_u32_e32 v4, vcc, 1, v2
	v_addc_co_u32_e32 v5, vcc, 0, v3, vcc
	v_cmp_lt_u64_e32 vcc, 1, v[4:5]
	v_cmp_eq_u16_e64 s[2:3], s7, 1
	s_and_b64 s[36:37], vcc, s[2:3]
	s_mov_b64 s[30:31], -1
	v_pk_mov_b32 v[2:3], v[0:1], v[0:1] op_sel:[0,1]
                                        ; implicit-def: $sgpr35
	s_and_saveexec_b64 s[2:3], s[36:37]
	s_cbranch_execz .LBB12_11
; %bb.8:
	v_and_b32_e32 v6, -2, v4
	v_mov_b32_e32 v7, v5
	v_lshl_add_u32 v8, v0, 2, 0
	s_mov_b64 s[30:31], 0
	v_mov_b32_e32 v9, 0
	v_pk_mov_b32 v[2:3], v[6:7], v[6:7] op_sel:[0,1]
.LBB12_9:                               ; =>This Inner Loop Header: Depth=1
	v_add_co_u32_e32 v2, vcc, -2, v2
	v_addc_co_u32_e32 v3, vcc, -1, v3, vcc
	v_cmp_eq_u64_e32 vcc, 0, v[2:3]
	ds_write2_b32 v8, v9, v9 offset1:1
	s_or_b64 s[30:31], vcc, s[30:31]
	v_add_u32_e32 v8, 8, v8
	s_andn2_b64 exec, exec, s[30:31]
	s_cbranch_execnz .LBB12_9
; %bb.10:
	s_or_b64 exec, exec, s[30:31]
	v_mad_u64_u32 v[2:3], s[30:31], v6, s33, v[0:1]
	v_mov_b32_e32 v8, v3
	v_mad_u64_u32 v[8:9], s[30:31], v7, s33, v[8:9]
	v_cmp_ne_u64_e32 vcc, v[4:5], v[6:7]
	v_mov_b32_e32 v3, v8
	s_mov_b32 s35, 1
	s_orn2_b64 s[30:31], vcc, exec
.LBB12_11:
	s_or_b64 exec, exec, s[2:3]
	v_mov_b32_e32 v4, s35
	s_and_saveexec_b64 s[2:3], s[30:31]
	s_cbranch_execz .LBB12_15
; %bb.12:
	v_lshl_add_u32 v4, v2, 2, 0
	s_lshl_b32 s35, s33, 2
	s_mov_b64 s[30:31], 0
	v_mov_b32_e32 v5, 0
	v_mov_b32_e32 v6, s34
.LBB12_13:                              ; =>This Inner Loop Header: Depth=1
	v_add_co_u32_e32 v2, vcc, s33, v2
	v_addc_co_u32_e32 v3, vcc, v3, v6, vcc
	v_cmp_le_i64_e32 vcc, s[18:19], v[2:3]
	ds_write_b32 v4, v5
	s_or_b64 s[30:31], vcc, s[30:31]
	v_add_u32_e32 v4, s35, v4
	s_andn2_b64 exec, exec, s[30:31]
	s_cbranch_execnz .LBB12_13
; %bb.14:
	s_or_b64 exec, exec, s[30:31]
	v_mov_b32_e32 v4, s7
.LBB12_15:
	s_or_b64 exec, exec, s[2:3]
.LBB12_16:
	s_or_b64 exec, exec, s[28:29]
	v_and_b32_e32 v2, 0xffff, v4
	v_mad_u64_u32 v[4:5], s[2:3], s6, v2, v[0:1]
	v_mov_b32_e32 v6, 0
	v_mov_b32_e32 v5, v6
	v_cmp_gt_i64_e32 vcc, s[14:15], v[4:5]
	s_waitcnt lgkmcnt(0)
	s_barrier
	s_waitcnt lgkmcnt(0)
                                        ; kill: def $vgpr3 killed $sgpr0 killed $exec
	s_and_saveexec_b64 s[6:7], vcc
	s_cbranch_execz .LBB12_32
; %bb.17:
	s_load_dword s30, s[4:5], 0x4d8
	s_add_u32 s31, s4, 0x340
	s_addc_u32 s35, s5, 0
	s_load_dword s34, s[26:27], 0x0
	s_load_dwordx2 s[28:29], s[4:5], 0x340
	s_waitcnt lgkmcnt(0)
	v_mul_lo_u32 v8, s34, v2
	s_load_dwordx2 s[26:27], s[4:5], 0x410
	s_cmp_gt_i32 s30, 1
	s_cselect_b64 s[2:3], -1, 0
	s_sub_u32 s33, s12, s10
	s_subb_u32 s46, s13, s11
	s_mov_b32 s5, 0
	s_add_i32 s4, s30, -1
	s_add_i32 s47, s30, 1
	s_lshl_b64 s[4:5], s[4:5], 3
	s_add_u32 s4, s4, s31
	s_addc_u32 s5, s5, s35
	s_add_u32 s30, s4, 8
	v_cndmask_b32_e64 v3, 0, 1, s[2:3]
	s_addc_u32 s31, s5, 0
	s_mov_b64 s[34:35], 0
	v_cmp_ne_u32_e64 s[2:3], 1, v3
	s_branch .LBB12_20
.LBB12_18:                              ;   in Loop: Header=BB12_20 Depth=1
	s_or_b64 exec, exec, s[4:5]
	v_mul_lo_u32 v3, v5, s24
	v_mul_lo_u32 v7, v4, s25
	v_mad_u64_u32 v[10:11], s[4:5], v4, s24, 0
	v_add3_u32 v11, v11, v7, v3
	v_lshlrev_b64 v[10:11], 2, v[10:11]
	v_mov_b32_e32 v3, s23
	v_add_co_u32_e32 v10, vcc, s22, v10
	v_addc_co_u32_e32 v11, vcc, v3, v11, vcc
	global_load_dword v3, v[10:11], off
	v_ashrrev_i32_e32 v13, 31, v12
	v_cmp_eq_u64_e32 vcc, s[8:9], v[12:13]
	v_subbrev_co_u32_e32 v7, vcc, 0, v12, vcc
	v_lshl_add_u32 v7, v7, 2, 0
	s_waitcnt vmcnt(0)
	ds_add_f32 v7, v3
	s_waitcnt lgkmcnt(0)
.LBB12_19:                              ;   in Loop: Header=BB12_20 Depth=1
	s_or_b64 exec, exec, s[36:37]
	v_add_co_u32_e32 v4, vcc, v4, v8
	v_addc_co_u32_e32 v5, vcc, 0, v5, vcc
	v_cmp_le_i64_e32 vcc, s[14:15], v[4:5]
	s_or_b64 s[34:35], vcc, s[34:35]
	s_andn2_b64 exec, exec, s[34:35]
	s_cbranch_execz .LBB12_32
.LBB12_20:                              ; =>This Loop Header: Depth=1
                                        ;     Child Loop BB12_21 Depth 2
	s_and_b64 vcc, exec, s[2:3]
	v_pk_mov_b32 v[10:11], 0, 0
	s_mov_b64 s[36:37], s[30:31]
	s_mov_b32 s48, s47
	v_pk_mov_b32 v[12:13], v[4:5], v[4:5] op_sel:[0,1]
	v_pk_mov_b32 v[14:15], v[4:5], v[4:5] op_sel:[0,1]
	s_cbranch_vccnz .LBB12_27
.LBB12_21:                              ;   Parent Loop BB12_20 Depth=1
                                        ; =>  This Inner Loop Header: Depth=2
	s_load_dwordx2 s[38:39], s[36:37], 0x0
                                        ; implicit-def: $vgpr14_vgpr15
	s_waitcnt lgkmcnt(0)
	v_or_b32_e32 v7, s39, v13
	v_cmp_ne_u64_e32 vcc, 0, v[6:7]
	s_and_saveexec_b64 s[4:5], vcc
	s_xor_b64 s[40:41], exec, s[4:5]
	s_cbranch_execz .LBB12_23
; %bb.22:                               ;   in Loop: Header=BB12_21 Depth=2
	s_ashr_i32 s42, s39, 31
	s_add_u32 s4, s38, s42
	s_mov_b32 s43, s42
	s_addc_u32 s5, s39, s42
	s_xor_b64 s[44:45], s[4:5], s[42:43]
	v_cvt_f32_u32_e32 v3, s44
	v_cvt_f32_u32_e32 v7, s45
	s_sub_u32 s4, 0, s44
	s_subb_u32 s5, 0, s45
	v_mac_f32_e32 v3, 0x4f800000, v7
	v_rcp_f32_e32 v3, v3
	v_mul_f32_e32 v3, 0x5f7ffffc, v3
	v_mul_f32_e32 v7, 0x2f800000, v3
	v_trunc_f32_e32 v7, v7
	v_mac_f32_e32 v3, 0xcf800000, v7
	v_cvt_u32_f32_e32 v7, v7
	v_cvt_u32_f32_e32 v3, v3
	v_mul_lo_u32 v9, s4, v7
	v_mul_hi_u32 v15, s4, v3
	v_mul_lo_u32 v14, s5, v3
	v_add_u32_e32 v9, v15, v9
	v_mul_lo_u32 v16, s4, v3
	v_add_u32_e32 v9, v9, v14
	v_mul_lo_u32 v15, v3, v9
	v_mul_hi_u32 v17, v3, v16
	v_mul_hi_u32 v14, v3, v9
	v_add_co_u32_e32 v15, vcc, v17, v15
	v_addc_co_u32_e32 v14, vcc, 0, v14, vcc
	v_mul_hi_u32 v18, v7, v16
	v_mul_lo_u32 v16, v7, v16
	v_add_co_u32_e32 v15, vcc, v15, v16
	v_mul_hi_u32 v17, v7, v9
	v_addc_co_u32_e32 v14, vcc, v14, v18, vcc
	v_addc_co_u32_e32 v15, vcc, 0, v17, vcc
	v_mul_lo_u32 v9, v7, v9
	v_add_co_u32_e32 v9, vcc, v14, v9
	v_addc_co_u32_e32 v14, vcc, 0, v15, vcc
	v_add_co_u32_e32 v3, vcc, v3, v9
	v_addc_co_u32_e32 v7, vcc, v7, v14, vcc
	v_mul_lo_u32 v9, s4, v7
	v_mul_hi_u32 v14, s4, v3
	v_add_u32_e32 v9, v14, v9
	v_mul_lo_u32 v14, s5, v3
	v_add_u32_e32 v9, v9, v14
	v_mul_lo_u32 v15, s4, v3
	v_mul_hi_u32 v16, v7, v15
	v_mul_lo_u32 v17, v7, v15
	v_mul_lo_u32 v19, v3, v9
	v_mul_hi_u32 v15, v3, v15
	v_mul_hi_u32 v18, v3, v9
	v_add_co_u32_e32 v15, vcc, v15, v19
	v_addc_co_u32_e32 v18, vcc, 0, v18, vcc
	v_add_co_u32_e32 v15, vcc, v15, v17
	v_mul_hi_u32 v14, v7, v9
	v_addc_co_u32_e32 v15, vcc, v18, v16, vcc
	v_addc_co_u32_e32 v14, vcc, 0, v14, vcc
	v_mul_lo_u32 v9, v7, v9
	v_add_co_u32_e32 v9, vcc, v15, v9
	v_addc_co_u32_e32 v14, vcc, 0, v14, vcc
	v_add_co_u32_e32 v3, vcc, v3, v9
	v_addc_co_u32_e32 v7, vcc, v7, v14, vcc
	v_ashrrev_i32_e32 v9, 31, v13
	v_add_co_u32_e32 v14, vcc, v12, v9
	v_addc_co_u32_e32 v15, vcc, v13, v9, vcc
	v_xor_b32_e32 v19, v14, v9
	v_xor_b32_e32 v18, v15, v9
	v_mad_u64_u32 v[14:15], s[4:5], v19, v7, 0
	v_mul_hi_u32 v16, v19, v3
	v_add_co_u32_e32 v20, vcc, v16, v14
	v_addc_co_u32_e32 v21, vcc, 0, v15, vcc
	v_mad_u64_u32 v[16:17], s[4:5], v18, v3, 0
	v_add_co_u32_e32 v3, vcc, v20, v16
	v_mad_u64_u32 v[14:15], s[4:5], v18, v7, 0
	v_addc_co_u32_e32 v3, vcc, v21, v17, vcc
	v_addc_co_u32_e32 v7, vcc, 0, v15, vcc
	v_add_co_u32_e32 v3, vcc, v3, v14
	v_addc_co_u32_e32 v7, vcc, 0, v7, vcc
	v_mul_lo_u32 v16, s45, v3
	v_mul_lo_u32 v17, s44, v7
	v_mad_u64_u32 v[14:15], s[4:5], s44, v3, 0
	v_add3_u32 v15, v15, v17, v16
	v_sub_u32_e32 v16, v18, v15
	v_mov_b32_e32 v17, s45
	v_sub_co_u32_e32 v14, vcc, v19, v14
	v_subb_co_u32_e64 v16, s[4:5], v16, v17, vcc
	v_subrev_co_u32_e64 v17, s[4:5], s44, v14
	v_subbrev_co_u32_e64 v16, s[4:5], 0, v16, s[4:5]
	v_cmp_le_u32_e64 s[4:5], s45, v16
	v_cndmask_b32_e64 v19, 0, -1, s[4:5]
	v_cmp_le_u32_e64 s[4:5], s44, v17
	v_cndmask_b32_e64 v17, 0, -1, s[4:5]
	v_cmp_eq_u32_e64 s[4:5], s45, v16
	v_cndmask_b32_e64 v16, v19, v17, s[4:5]
	v_add_co_u32_e64 v17, s[4:5], 2, v3
	v_subb_co_u32_e32 v15, vcc, v18, v15, vcc
	v_addc_co_u32_e64 v19, s[4:5], 0, v7, s[4:5]
	v_cmp_le_u32_e32 vcc, s45, v15
	v_add_co_u32_e64 v20, s[4:5], 1, v3
	v_cndmask_b32_e64 v18, 0, -1, vcc
	v_cmp_le_u32_e32 vcc, s44, v14
	v_addc_co_u32_e64 v21, s[4:5], 0, v7, s[4:5]
	v_cndmask_b32_e64 v14, 0, -1, vcc
	v_cmp_eq_u32_e32 vcc, s45, v15
	v_cmp_ne_u32_e64 s[4:5], 0, v16
	v_cndmask_b32_e32 v14, v18, v14, vcc
	v_cmp_ne_u32_e32 vcc, 0, v14
	v_cndmask_b32_e64 v14, v20, v17, s[4:5]
	v_cndmask_b32_e64 v16, v21, v19, s[4:5]
	v_cndmask_b32_e32 v3, v3, v14, vcc
	v_xor_b32_e32 v9, s42, v9
	v_cndmask_b32_e32 v7, v7, v16, vcc
	v_xor_b32_e32 v3, v3, v9
	v_xor_b32_e32 v7, v7, v9
	v_sub_co_u32_e32 v14, vcc, v3, v9
	v_subb_co_u32_e32 v15, vcc, v7, v9, vcc
.LBB12_23:                              ;   in Loop: Header=BB12_21 Depth=2
	s_andn2_saveexec_b64 s[4:5], s[40:41]
	s_cbranch_execz .LBB12_25
; %bb.24:                               ;   in Loop: Header=BB12_21 Depth=2
	v_cvt_f32_u32_e32 v3, s38
	s_sub_i32 s40, 0, s38
	v_mov_b32_e32 v15, v6
	v_rcp_iflag_f32_e32 v3, v3
	v_mul_f32_e32 v3, 0x4f7ffffe, v3
	v_cvt_u32_f32_e32 v3, v3
	v_mul_lo_u32 v7, s40, v3
	v_mul_hi_u32 v7, v3, v7
	v_add_u32_e32 v3, v3, v7
	v_mul_hi_u32 v3, v12, v3
	v_mul_lo_u32 v7, v3, s38
	v_sub_u32_e32 v7, v12, v7
	v_add_u32_e32 v9, 1, v3
	v_subrev_u32_e32 v14, s38, v7
	v_cmp_le_u32_e32 vcc, s38, v7
	v_cndmask_b32_e32 v7, v7, v14, vcc
	v_cndmask_b32_e32 v3, v3, v9, vcc
	v_add_u32_e32 v9, 1, v3
	v_cmp_le_u32_e32 vcc, s38, v7
	v_cndmask_b32_e32 v14, v3, v9, vcc
.LBB12_25:                              ;   in Loop: Header=BB12_21 Depth=2
	s_or_b64 exec, exec, s[4:5]
	v_mad_u64_u32 v[16:17], s[4:5], v14, s38, 0
	s_load_dwordx2 s[4:5], s[36:37], 0xc8
	v_mul_lo_u32 v3, v15, s38
	v_mul_lo_u32 v7, v14, s39
	v_add3_u32 v3, v17, v7, v3
	v_sub_co_u32_e32 v7, vcc, v12, v16
	s_add_i32 s48, s48, -1
	v_subb_co_u32_e32 v3, vcc, v13, v3, vcc
	s_add_u32 s36, s36, -8
	s_waitcnt lgkmcnt(0)
	v_mul_lo_u32 v3, s4, v3
	v_mul_lo_u32 v9, s5, v7
	v_mad_u64_u32 v[10:11], s[4:5], s4, v7, v[10:11]
	s_addc_u32 s37, s37, -1
	s_cmp_gt_u32 s48, 2
	v_add3_u32 v11, v9, v11, v3
	s_cbranch_scc0 .LBB12_27
; %bb.26:                               ;   in Loop: Header=BB12_21 Depth=2
	v_pk_mov_b32 v[12:13], v[14:15], v[14:15] op_sel:[0,1]
	s_branch .LBB12_21
.LBB12_27:                              ;   in Loop: Header=BB12_20 Depth=1
	v_pk_mov_b32 v[12:13], s[28:29], s[28:29] op_sel:[0,1]
	s_waitcnt lgkmcnt(0)
	v_mad_u64_u32 v[12:13], s[4:5], s26, v14, v[12:13]
	v_mul_lo_u32 v3, s26, v15
	v_mul_lo_u32 v7, s27, v14
	v_add3_u32 v3, v7, v13, v3
	v_add_co_u32_e32 v10, vcc, v12, v10
	v_addc_co_u32_e32 v11, vcc, v3, v11, vcc
	global_load_sbyte v3, v[10:11], off
	s_waitcnt vmcnt(0)
	v_bfe_i32 v10, v3, 0, 16
	v_ashrrev_i32_e32 v11, 31, v10
	v_cmp_le_i64_e32 vcc, s[10:11], v[10:11]
	v_cmp_ge_i64_e64 s[4:5], s[12:13], v[10:11]
	s_and_b64 s[4:5], vcc, s[4:5]
	s_and_saveexec_b64 s[36:37], s[4:5]
	s_cbranch_execz .LBB12_19
; %bb.28:                               ;   in Loop: Header=BB12_20 Depth=1
	v_mov_b32_e32 v3, s11
	v_subrev_co_u32_e32 v7, vcc, s10, v10
	v_subb_co_u32_e32 v3, vcc, v11, v3, vcc
	v_mul_lo_u32 v3, v3, s8
	v_mul_lo_u32 v9, v7, s9
	v_mad_u64_u32 v[10:11], s[4:5], v7, s8, 0
	v_add3_u32 v11, v11, v9, v3
	v_or_b32_e32 v7, s46, v11
	v_cmp_ne_u64_e32 vcc, 0, v[6:7]
                                        ; implicit-def: $vgpr12_vgpr13
	s_and_saveexec_b64 s[4:5], vcc
	s_xor_b64 s[38:39], exec, s[4:5]
	s_cbranch_execz .LBB12_30
; %bb.29:                               ;   in Loop: Header=BB12_20 Depth=1
	s_ashr_i32 s40, s46, 31
	s_add_u32 s4, s33, s40
	s_mov_b32 s41, s40
	s_addc_u32 s5, s46, s40
	s_xor_b64 s[42:43], s[4:5], s[40:41]
	v_cvt_f32_u32_e32 v3, s42
	v_cvt_f32_u32_e32 v7, s43
	s_sub_u32 s4, 0, s42
	s_subb_u32 s5, 0, s43
	v_mac_f32_e32 v3, 0x4f800000, v7
	v_rcp_f32_e32 v3, v3
	v_mul_f32_e32 v3, 0x5f7ffffc, v3
	v_mul_f32_e32 v7, 0x2f800000, v3
	v_trunc_f32_e32 v7, v7
	v_mac_f32_e32 v3, 0xcf800000, v7
	v_cvt_u32_f32_e32 v7, v7
	v_cvt_u32_f32_e32 v3, v3
	v_mul_lo_u32 v9, s4, v7
	v_mul_hi_u32 v13, s4, v3
	v_mul_lo_u32 v12, s5, v3
	v_add_u32_e32 v9, v13, v9
	v_mul_lo_u32 v14, s4, v3
	v_add_u32_e32 v9, v9, v12
	v_mul_lo_u32 v13, v3, v9
	v_mul_hi_u32 v15, v3, v14
	v_mul_hi_u32 v12, v3, v9
	v_add_co_u32_e32 v13, vcc, v15, v13
	v_addc_co_u32_e32 v12, vcc, 0, v12, vcc
	v_mul_hi_u32 v16, v7, v14
	v_mul_lo_u32 v14, v7, v14
	v_add_co_u32_e32 v13, vcc, v13, v14
	v_mul_hi_u32 v15, v7, v9
	v_addc_co_u32_e32 v12, vcc, v12, v16, vcc
	v_addc_co_u32_e32 v13, vcc, 0, v15, vcc
	v_mul_lo_u32 v9, v7, v9
	v_add_co_u32_e32 v9, vcc, v12, v9
	v_addc_co_u32_e32 v12, vcc, 0, v13, vcc
	v_add_co_u32_e32 v3, vcc, v3, v9
	v_addc_co_u32_e32 v7, vcc, v7, v12, vcc
	v_mul_lo_u32 v9, s4, v7
	v_mul_hi_u32 v12, s4, v3
	v_add_u32_e32 v9, v12, v9
	v_mul_lo_u32 v12, s5, v3
	v_add_u32_e32 v9, v9, v12
	v_mul_lo_u32 v13, s4, v3
	v_mul_hi_u32 v14, v7, v13
	v_mul_lo_u32 v15, v7, v13
	v_mul_lo_u32 v17, v3, v9
	v_mul_hi_u32 v13, v3, v13
	v_mul_hi_u32 v16, v3, v9
	v_add_co_u32_e32 v13, vcc, v13, v17
	v_addc_co_u32_e32 v16, vcc, 0, v16, vcc
	v_add_co_u32_e32 v13, vcc, v13, v15
	v_mul_hi_u32 v12, v7, v9
	v_addc_co_u32_e32 v13, vcc, v16, v14, vcc
	v_addc_co_u32_e32 v12, vcc, 0, v12, vcc
	v_mul_lo_u32 v9, v7, v9
	v_add_co_u32_e32 v9, vcc, v13, v9
	v_addc_co_u32_e32 v12, vcc, 0, v12, vcc
	v_add_co_u32_e32 v3, vcc, v3, v9
	v_addc_co_u32_e32 v7, vcc, v7, v12, vcc
	v_ashrrev_i32_e32 v9, 31, v11
	v_add_co_u32_e32 v10, vcc, v10, v9
	v_addc_co_u32_e32 v11, vcc, v11, v9, vcc
	v_xor_b32_e32 v15, v10, v9
	v_xor_b32_e32 v14, v11, v9
	v_mad_u64_u32 v[10:11], s[4:5], v15, v7, 0
	v_mul_hi_u32 v12, v15, v3
	v_add_co_u32_e32 v16, vcc, v12, v10
	v_addc_co_u32_e32 v17, vcc, 0, v11, vcc
	v_mad_u64_u32 v[12:13], s[4:5], v14, v3, 0
	v_add_co_u32_e32 v3, vcc, v16, v12
	v_mad_u64_u32 v[10:11], s[4:5], v14, v7, 0
	v_addc_co_u32_e32 v3, vcc, v17, v13, vcc
	v_addc_co_u32_e32 v7, vcc, 0, v11, vcc
	v_add_co_u32_e32 v3, vcc, v3, v10
	v_addc_co_u32_e32 v7, vcc, 0, v7, vcc
	v_mul_lo_u32 v12, s43, v3
	v_mul_lo_u32 v7, s42, v7
	v_mad_u64_u32 v[10:11], s[4:5], s42, v3, 0
	v_add3_u32 v7, v11, v7, v12
	v_sub_u32_e32 v11, v14, v7
	v_mov_b32_e32 v12, s43
	v_sub_co_u32_e32 v10, vcc, v15, v10
	v_subb_co_u32_e64 v11, s[4:5], v11, v12, vcc
	v_subrev_co_u32_e64 v12, s[4:5], s42, v10
	v_subbrev_co_u32_e64 v11, s[4:5], 0, v11, s[4:5]
	v_cmp_le_u32_e64 s[4:5], s43, v11
	v_subb_co_u32_e32 v7, vcc, v14, v7, vcc
	v_cndmask_b32_e64 v13, 0, -1, s[4:5]
	v_cmp_le_u32_e64 s[4:5], s42, v12
	v_cmp_le_u32_e32 vcc, s43, v7
	v_cndmask_b32_e64 v12, 0, -1, s[4:5]
	v_cmp_eq_u32_e64 s[4:5], s43, v11
	v_cndmask_b32_e64 v14, 0, -1, vcc
	v_cmp_le_u32_e32 vcc, s42, v10
	v_cndmask_b32_e64 v11, v13, v12, s[4:5]
	v_cndmask_b32_e64 v10, 0, -1, vcc
	v_cmp_eq_u32_e32 vcc, s43, v7
	v_add_co_u32_e64 v12, s[4:5], 2, v3
	v_add_co_u32_e64 v13, s[4:5], 1, v3
	v_cndmask_b32_e32 v7, v14, v10, vcc
	v_cmp_ne_u32_e32 vcc, 0, v11
	v_cndmask_b32_e32 v10, v13, v12, vcc
	v_cmp_ne_u32_e32 vcc, 0, v7
	v_cndmask_b32_e32 v3, v3, v10, vcc
	v_xor_b32_e32 v7, s40, v9
	v_xor_b32_e32 v3, v3, v7
	v_sub_co_u32_e32 v12, vcc, v3, v7
                                        ; implicit-def: $vgpr10_vgpr11
.LBB12_30:                              ;   in Loop: Header=BB12_20 Depth=1
	s_andn2_saveexec_b64 s[4:5], s[38:39]
	s_cbranch_execz .LBB12_18
; %bb.31:                               ;   in Loop: Header=BB12_20 Depth=1
	v_cvt_f32_u32_e32 v3, s33
	s_sub_i32 s38, 0, s33
	v_rcp_iflag_f32_e32 v3, v3
	v_mul_f32_e32 v3, 0x4f7ffffe, v3
	v_cvt_u32_f32_e32 v3, v3
	v_mul_lo_u32 v7, s38, v3
	v_mul_hi_u32 v7, v3, v7
	v_add_u32_e32 v3, v3, v7
	v_mul_hi_u32 v3, v10, v3
	v_mul_lo_u32 v7, v3, s33
	v_sub_u32_e32 v7, v10, v7
	v_add_u32_e32 v9, 1, v3
	v_subrev_u32_e32 v10, s33, v7
	v_cmp_le_u32_e32 vcc, s33, v7
	v_cndmask_b32_e32 v7, v7, v10, vcc
	v_cndmask_b32_e32 v3, v3, v9, vcc
	v_add_u32_e32 v9, 1, v3
	v_cmp_le_u32_e32 vcc, s33, v7
	v_cndmask_b32_e32 v12, v3, v9, vcc
	s_branch .LBB12_18
.LBB12_32:
	s_or_b64 exec, exec, s[6:7]
; %bb.33:
	s_barrier
	s_and_saveexec_b64 s[2:3], s[0:1]
	s_cbranch_execz .LBB12_36
; %bb.34:
	v_mad_u64_u32 v[4:5], s[0:1], s20, v0, 0
	v_mov_b32_e32 v6, v5
	v_mad_u64_u32 v[6:7], s[0:1], s21, v0, v[6:7]
	v_mov_b32_e32 v5, v6
	;; [unrolled: 2-line block ×3, first 2 shown]
	v_lshlrev_b64 v[4:5], 2, v[4:5]
	v_mad_u64_u32 v[8:9], s[0:1], s21, v2, v[8:9]
	v_mov_b32_e32 v3, s17
	v_add_co_u32_e32 v4, vcc, s16, v4
	v_mov_b32_e32 v7, v8
	v_addc_co_u32_e32 v5, vcc, v3, v5, vcc
	v_lshlrev_b64 v[6:7], 2, v[6:7]
	v_lshl_add_u32 v3, v0, 2, 0
	v_lshlrev_b32_e32 v8, 2, v2
	s_mov_b64 s[0:1], 0
.LBB12_35:                              ; =>This Inner Loop Header: Depth=1
	ds_read_b32 v9, v3
	v_add_co_u32_e32 v0, vcc, v0, v2
	v_addc_co_u32_e32 v1, vcc, 0, v1, vcc
	s_waitcnt lgkmcnt(0)
	global_atomic_add_f32 v[4:5], v9, off
	v_cmp_le_i64_e32 vcc, s[18:19], v[0:1]
	s_or_b64 s[0:1], vcc, s[0:1]
	v_add_co_u32_e32 v4, vcc, v4, v6
	v_add_u32_e32 v3, v3, v8
	v_addc_co_u32_e32 v5, vcc, v5, v7, vcc
	s_andn2_b64 exec, exec, s[0:1]
	s_cbranch_execnz .LBB12_35
.LBB12_36:
	s_endpgm
	.section	.rodata,"a",@progbits
	.p2align	6, 0x0
	.amdhsa_kernel _ZN2at4cuda17kernelHistogram1DIfalLi1ELi2ELin1ELNS0_23CUDAHistogramMemoryTypeE0EZNS0_21CUDA_tensor_histogramIfaLb1EEEbNS_6TensorES4_S4_lNS_14AccumulateTypeIT0_Lb1EE4typeES8_NS0_13TensorArgTypeES9_S9_EUllE_EEvNS0_6detail10TensorInfoIT_T1_EESF_NSC_IKS6_SE_EElS8_S8_SE_T6_
		.amdhsa_group_segment_fixed_size 0
		.amdhsa_private_segment_fixed_size 0
		.amdhsa_kernarg_size 1952
		.amdhsa_user_sgpr_count 6
		.amdhsa_user_sgpr_private_segment_buffer 1
		.amdhsa_user_sgpr_dispatch_ptr 0
		.amdhsa_user_sgpr_queue_ptr 0
		.amdhsa_user_sgpr_kernarg_segment_ptr 1
		.amdhsa_user_sgpr_dispatch_id 0
		.amdhsa_user_sgpr_flat_scratch_init 0
		.amdhsa_user_sgpr_kernarg_preload_length 0
		.amdhsa_user_sgpr_kernarg_preload_offset 0
		.amdhsa_user_sgpr_private_segment_size 0
		.amdhsa_uses_dynamic_stack 0
		.amdhsa_system_sgpr_private_segment_wavefront_offset 0
		.amdhsa_system_sgpr_workgroup_id_x 1
		.amdhsa_system_sgpr_workgroup_id_y 0
		.amdhsa_system_sgpr_workgroup_id_z 0
		.amdhsa_system_sgpr_workgroup_info 0
		.amdhsa_system_vgpr_workitem_id 0
		.amdhsa_next_free_vgpr 22
		.amdhsa_next_free_sgpr 49
		.amdhsa_accum_offset 24
		.amdhsa_reserve_vcc 1
		.amdhsa_reserve_flat_scratch 0
		.amdhsa_float_round_mode_32 0
		.amdhsa_float_round_mode_16_64 0
		.amdhsa_float_denorm_mode_32 3
		.amdhsa_float_denorm_mode_16_64 3
		.amdhsa_dx10_clamp 1
		.amdhsa_ieee_mode 1
		.amdhsa_fp16_overflow 0
		.amdhsa_tg_split 0
		.amdhsa_exception_fp_ieee_invalid_op 0
		.amdhsa_exception_fp_denorm_src 0
		.amdhsa_exception_fp_ieee_div_zero 0
		.amdhsa_exception_fp_ieee_overflow 0
		.amdhsa_exception_fp_ieee_underflow 0
		.amdhsa_exception_fp_ieee_inexact 0
		.amdhsa_exception_int_div_zero 0
	.end_amdhsa_kernel
	.section	.text._ZN2at4cuda17kernelHistogram1DIfalLi1ELi2ELin1ELNS0_23CUDAHistogramMemoryTypeE0EZNS0_21CUDA_tensor_histogramIfaLb1EEEbNS_6TensorES4_S4_lNS_14AccumulateTypeIT0_Lb1EE4typeES8_NS0_13TensorArgTypeES9_S9_EUllE_EEvNS0_6detail10TensorInfoIT_T1_EESF_NSC_IKS6_SE_EElS8_S8_SE_T6_,"axG",@progbits,_ZN2at4cuda17kernelHistogram1DIfalLi1ELi2ELin1ELNS0_23CUDAHistogramMemoryTypeE0EZNS0_21CUDA_tensor_histogramIfaLb1EEEbNS_6TensorES4_S4_lNS_14AccumulateTypeIT0_Lb1EE4typeES8_NS0_13TensorArgTypeES9_S9_EUllE_EEvNS0_6detail10TensorInfoIT_T1_EESF_NSC_IKS6_SE_EElS8_S8_SE_T6_,comdat
.Lfunc_end12:
	.size	_ZN2at4cuda17kernelHistogram1DIfalLi1ELi2ELin1ELNS0_23CUDAHistogramMemoryTypeE0EZNS0_21CUDA_tensor_histogramIfaLb1EEEbNS_6TensorES4_S4_lNS_14AccumulateTypeIT0_Lb1EE4typeES8_NS0_13TensorArgTypeES9_S9_EUllE_EEvNS0_6detail10TensorInfoIT_T1_EESF_NSC_IKS6_SE_EElS8_S8_SE_T6_, .Lfunc_end12-_ZN2at4cuda17kernelHistogram1DIfalLi1ELi2ELin1ELNS0_23CUDAHistogramMemoryTypeE0EZNS0_21CUDA_tensor_histogramIfaLb1EEEbNS_6TensorES4_S4_lNS_14AccumulateTypeIT0_Lb1EE4typeES8_NS0_13TensorArgTypeES9_S9_EUllE_EEvNS0_6detail10TensorInfoIT_T1_EESF_NSC_IKS6_SE_EElS8_S8_SE_T6_
                                        ; -- End function
	.section	.AMDGPU.csdata,"",@progbits
; Kernel info:
; codeLenInByte = 3444
; NumSgprs: 53
; NumVgprs: 22
; NumAgprs: 0
; TotalNumVgprs: 22
; ScratchSize: 0
; MemoryBound: 0
; FloatMode: 240
; IeeeMode: 1
; LDSByteSize: 0 bytes/workgroup (compile time only)
; SGPRBlocks: 6
; VGPRBlocks: 2
; NumSGPRsForWavesPerEU: 53
; NumVGPRsForWavesPerEU: 22
; AccumOffset: 24
; Occupancy: 8
; WaveLimiterHint : 1
; COMPUTE_PGM_RSRC2:SCRATCH_EN: 0
; COMPUTE_PGM_RSRC2:USER_SGPR: 6
; COMPUTE_PGM_RSRC2:TRAP_HANDLER: 0
; COMPUTE_PGM_RSRC2:TGID_X_EN: 1
; COMPUTE_PGM_RSRC2:TGID_Y_EN: 0
; COMPUTE_PGM_RSRC2:TGID_Z_EN: 0
; COMPUTE_PGM_RSRC2:TIDIG_COMP_CNT: 0
; COMPUTE_PGM_RSRC3_GFX90A:ACCUM_OFFSET: 5
; COMPUTE_PGM_RSRC3_GFX90A:TG_SPLIT: 0
	.section	.text._ZN2at4cuda17kernelHistogram1DIfalLi1ELi2ELin1ELNS0_23CUDAHistogramMemoryTypeE1EZNS0_21CUDA_tensor_histogramIfaLb1EEEbNS_6TensorES4_S4_lNS_14AccumulateTypeIT0_Lb1EE4typeES8_NS0_13TensorArgTypeES9_S9_EUllE_EEvNS0_6detail10TensorInfoIT_T1_EESF_NSC_IKS6_SE_EElS8_S8_SE_T6_,"axG",@progbits,_ZN2at4cuda17kernelHistogram1DIfalLi1ELi2ELin1ELNS0_23CUDAHistogramMemoryTypeE1EZNS0_21CUDA_tensor_histogramIfaLb1EEEbNS_6TensorES4_S4_lNS_14AccumulateTypeIT0_Lb1EE4typeES8_NS0_13TensorArgTypeES9_S9_EUllE_EEvNS0_6detail10TensorInfoIT_T1_EESF_NSC_IKS6_SE_EElS8_S8_SE_T6_,comdat
	.protected	_ZN2at4cuda17kernelHistogram1DIfalLi1ELi2ELin1ELNS0_23CUDAHistogramMemoryTypeE1EZNS0_21CUDA_tensor_histogramIfaLb1EEEbNS_6TensorES4_S4_lNS_14AccumulateTypeIT0_Lb1EE4typeES8_NS0_13TensorArgTypeES9_S9_EUllE_EEvNS0_6detail10TensorInfoIT_T1_EESF_NSC_IKS6_SE_EElS8_S8_SE_T6_ ; -- Begin function _ZN2at4cuda17kernelHistogram1DIfalLi1ELi2ELin1ELNS0_23CUDAHistogramMemoryTypeE1EZNS0_21CUDA_tensor_histogramIfaLb1EEEbNS_6TensorES4_S4_lNS_14AccumulateTypeIT0_Lb1EE4typeES8_NS0_13TensorArgTypeES9_S9_EUllE_EEvNS0_6detail10TensorInfoIT_T1_EESF_NSC_IKS6_SE_EElS8_S8_SE_T6_
	.globl	_ZN2at4cuda17kernelHistogram1DIfalLi1ELi2ELin1ELNS0_23CUDAHistogramMemoryTypeE1EZNS0_21CUDA_tensor_histogramIfaLb1EEEbNS_6TensorES4_S4_lNS_14AccumulateTypeIT0_Lb1EE4typeES8_NS0_13TensorArgTypeES9_S9_EUllE_EEvNS0_6detail10TensorInfoIT_T1_EESF_NSC_IKS6_SE_EElS8_S8_SE_T6_
	.p2align	8
	.type	_ZN2at4cuda17kernelHistogram1DIfalLi1ELi2ELin1ELNS0_23CUDAHistogramMemoryTypeE1EZNS0_21CUDA_tensor_histogramIfaLb1EEEbNS_6TensorES4_S4_lNS_14AccumulateTypeIT0_Lb1EE4typeES8_NS0_13TensorArgTypeES9_S9_EUllE_EEvNS0_6detail10TensorInfoIT_T1_EESF_NSC_IKS6_SE_EElS8_S8_SE_T6_,@function
_ZN2at4cuda17kernelHistogram1DIfalLi1ELi2ELin1ELNS0_23CUDAHistogramMemoryTypeE1EZNS0_21CUDA_tensor_histogramIfaLb1EEEbNS_6TensorES4_S4_lNS_14AccumulateTypeIT0_Lb1EE4typeES8_NS0_13TensorArgTypeES9_S9_EUllE_EEvNS0_6detail10TensorInfoIT_T1_EESF_NSC_IKS6_SE_EElS8_S8_SE_T6_: ; @_ZN2at4cuda17kernelHistogram1DIfalLi1ELi2ELin1ELNS0_23CUDAHistogramMemoryTypeE1EZNS0_21CUDA_tensor_histogramIfaLb1EEEbNS_6TensorES4_S4_lNS_14AccumulateTypeIT0_Lb1EE4typeES8_NS0_13TensorArgTypeES9_S9_EUllE_EEvNS0_6detail10TensorInfoIT_T1_EESF_NSC_IKS6_SE_EElS8_S8_SE_T6_
; %bb.0:
	s_load_dword s2, s[4:5], 0x6ac
	s_load_dwordx8 s[8:15], s[4:5], 0x4e0
	s_add_u32 s0, s4, 0x6a0
	s_addc_u32 s1, s5, 0
	v_mov_b32_e32 v2, 0
	s_waitcnt lgkmcnt(0)
	s_and_b32 s2, s2, 0xffff
	s_mul_i32 s6, s6, s2
	v_add_u32_e32 v0, s6, v0
	v_mov_b32_e32 v1, v2
	v_cmp_gt_i64_e32 vcc, s[14:15], v[0:1]
	s_and_saveexec_b64 s[6:7], vcc
	s_cbranch_execz .LBB13_16
; %bb.1:
	s_load_dwordx2 s[6:7], s[4:5], 0x5d0
	s_load_dwordx2 s[16:17], s[4:5], 0x500
	s_load_dword s3, s[4:5], 0x4d8
	s_load_dwordx2 s[18:19], s[4:5], 0x0
	s_load_dwordx2 s[20:21], s[4:5], 0xd0
	s_load_dword s28, s[0:1], 0x0
	s_add_u32 s26, s4, 0x340
	s_addc_u32 s27, s5, 0
	s_mov_b32 s42, 0
	s_waitcnt lgkmcnt(0)
	s_cmp_gt_i32 s3, 1
	s_cselect_b64 s[0:1], -1, 0
	s_sub_u32 s33, s12, s10
	s_subb_u32 s40, s13, s11
	s_mul_i32 s41, s28, s2
	s_add_i32 s43, s3, 1
	s_add_i32 s2, s3, -1
	s_mov_b32 s3, s42
	s_load_dwordx2 s[22:23], s[4:5], 0x410
	s_load_dwordx2 s[24:25], s[4:5], 0x340
	s_lshl_b64 s[2:3], s[2:3], 3
	s_add_u32 s2, s2, s26
	s_addc_u32 s3, s3, s27
	s_add_u32 s4, s2, 8
	v_cndmask_b32_e64 v3, 0, 1, s[0:1]
	s_addc_u32 s5, s3, 0
	s_mov_b64 s[26:27], 0
	v_cmp_ne_u32_e64 s[0:1], 1, v3
	s_branch .LBB13_4
.LBB13_2:                               ;   in Loop: Header=BB13_4 Depth=1
	s_or_b64 exec, exec, s[2:3]
	v_mul_lo_u32 v3, v1, s6
	v_mul_lo_u32 v7, v0, s7
	v_mad_u64_u32 v[4:5], s[2:3], v0, s6, 0
	v_add3_u32 v5, v5, v7, v3
	v_lshlrev_b64 v[4:5], 2, v[4:5]
	v_mov_b32_e32 v3, s17
	v_add_co_u32_e32 v4, vcc, s16, v4
	v_addc_co_u32_e32 v5, vcc, v3, v5, vcc
	global_load_dword v3, v[4:5], off
	v_ashrrev_i32_e32 v7, 31, v6
	v_cmp_eq_u64_e32 vcc, s[8:9], v[6:7]
	v_cndmask_b32_e64 v4, 0, 1, vcc
	v_sub_co_u32_e32 v4, vcc, v6, v4
	v_subbrev_co_u32_e32 v5, vcc, 0, v7, vcc
	v_mul_lo_u32 v6, v5, s20
	v_mul_lo_u32 v7, v4, s21
	v_mad_u64_u32 v[4:5], s[2:3], v4, s20, 0
	v_add3_u32 v5, v5, v7, v6
	v_lshlrev_b64 v[4:5], 2, v[4:5]
	v_mov_b32_e32 v6, s19
	v_add_co_u32_e32 v4, vcc, s18, v4
	v_addc_co_u32_e32 v5, vcc, v6, v5, vcc
	s_waitcnt vmcnt(0)
	global_atomic_add_f32 v[4:5], v3, off
.LBB13_3:                               ;   in Loop: Header=BB13_4 Depth=1
	s_or_b64 exec, exec, s[28:29]
	v_mov_b32_e32 v3, s42
	v_add_co_u32_e32 v0, vcc, s41, v0
	v_addc_co_u32_e32 v1, vcc, v1, v3, vcc
	v_cmp_le_i64_e32 vcc, s[14:15], v[0:1]
	s_or_b64 s[26:27], vcc, s[26:27]
	s_andn2_b64 exec, exec, s[26:27]
	s_cbranch_execz .LBB13_16
.LBB13_4:                               ; =>This Loop Header: Depth=1
                                        ;     Child Loop BB13_5 Depth 2
	s_and_b64 vcc, exec, s[0:1]
	v_pk_mov_b32 v[4:5], 0, 0
	s_mov_b64 s[28:29], s[4:5]
	s_mov_b32 s44, s43
	v_pk_mov_b32 v[6:7], v[0:1], v[0:1] op_sel:[0,1]
	v_pk_mov_b32 v[8:9], v[0:1], v[0:1] op_sel:[0,1]
	s_cbranch_vccnz .LBB13_11
.LBB13_5:                               ;   Parent Loop BB13_4 Depth=1
                                        ; =>  This Inner Loop Header: Depth=2
	s_load_dwordx2 s[30:31], s[28:29], 0x0
                                        ; implicit-def: $vgpr8_vgpr9
	s_waitcnt lgkmcnt(0)
	v_or_b32_e32 v3, s31, v7
	v_cmp_ne_u64_e32 vcc, 0, v[2:3]
	s_and_saveexec_b64 s[2:3], vcc
	s_xor_b64 s[34:35], exec, s[2:3]
	s_cbranch_execz .LBB13_7
; %bb.6:                                ;   in Loop: Header=BB13_5 Depth=2
	s_ashr_i32 s36, s31, 31
	s_add_u32 s2, s30, s36
	s_mov_b32 s37, s36
	s_addc_u32 s3, s31, s36
	s_xor_b64 s[38:39], s[2:3], s[36:37]
	v_cvt_f32_u32_e32 v3, s38
	v_cvt_f32_u32_e32 v8, s39
	s_sub_u32 s2, 0, s38
	s_subb_u32 s3, 0, s39
	v_mac_f32_e32 v3, 0x4f800000, v8
	v_rcp_f32_e32 v3, v3
	v_mul_f32_e32 v3, 0x5f7ffffc, v3
	v_mul_f32_e32 v8, 0x2f800000, v3
	v_trunc_f32_e32 v8, v8
	v_mac_f32_e32 v3, 0xcf800000, v8
	v_cvt_u32_f32_e32 v8, v8
	v_cvt_u32_f32_e32 v3, v3
	v_mul_lo_u32 v9, s2, v8
	v_mul_hi_u32 v11, s2, v3
	v_mul_lo_u32 v10, s3, v3
	v_add_u32_e32 v9, v11, v9
	v_mul_lo_u32 v12, s2, v3
	v_add_u32_e32 v9, v9, v10
	v_mul_lo_u32 v11, v3, v9
	v_mul_hi_u32 v13, v3, v12
	v_mul_hi_u32 v10, v3, v9
	v_add_co_u32_e32 v11, vcc, v13, v11
	v_addc_co_u32_e32 v10, vcc, 0, v10, vcc
	v_mul_hi_u32 v14, v8, v12
	v_mul_lo_u32 v12, v8, v12
	v_add_co_u32_e32 v11, vcc, v11, v12
	v_mul_hi_u32 v13, v8, v9
	v_addc_co_u32_e32 v10, vcc, v10, v14, vcc
	v_addc_co_u32_e32 v11, vcc, 0, v13, vcc
	v_mul_lo_u32 v9, v8, v9
	v_add_co_u32_e32 v9, vcc, v10, v9
	v_addc_co_u32_e32 v10, vcc, 0, v11, vcc
	v_add_co_u32_e32 v3, vcc, v3, v9
	v_addc_co_u32_e32 v8, vcc, v8, v10, vcc
	v_mul_lo_u32 v9, s2, v8
	v_mul_hi_u32 v10, s2, v3
	v_add_u32_e32 v9, v10, v9
	v_mul_lo_u32 v10, s3, v3
	v_add_u32_e32 v9, v9, v10
	v_mul_lo_u32 v11, s2, v3
	v_mul_hi_u32 v12, v8, v11
	v_mul_lo_u32 v13, v8, v11
	v_mul_lo_u32 v15, v3, v9
	v_mul_hi_u32 v11, v3, v11
	v_mul_hi_u32 v14, v3, v9
	v_add_co_u32_e32 v11, vcc, v11, v15
	v_addc_co_u32_e32 v14, vcc, 0, v14, vcc
	v_add_co_u32_e32 v11, vcc, v11, v13
	v_mul_hi_u32 v10, v8, v9
	v_addc_co_u32_e32 v11, vcc, v14, v12, vcc
	v_addc_co_u32_e32 v10, vcc, 0, v10, vcc
	v_mul_lo_u32 v9, v8, v9
	v_add_co_u32_e32 v9, vcc, v11, v9
	v_addc_co_u32_e32 v10, vcc, 0, v10, vcc
	v_add_co_u32_e32 v3, vcc, v3, v9
	v_addc_co_u32_e32 v10, vcc, v8, v10, vcc
	v_ashrrev_i32_e32 v12, 31, v7
	v_add_co_u32_e32 v8, vcc, v6, v12
	v_addc_co_u32_e32 v9, vcc, v7, v12, vcc
	v_xor_b32_e32 v14, v8, v12
	v_xor_b32_e32 v13, v9, v12
	v_mad_u64_u32 v[8:9], s[2:3], v14, v10, 0
	v_mul_hi_u32 v11, v14, v3
	v_add_co_u32_e32 v15, vcc, v11, v8
	v_addc_co_u32_e32 v16, vcc, 0, v9, vcc
	v_mad_u64_u32 v[8:9], s[2:3], v13, v10, 0
	v_mad_u64_u32 v[10:11], s[2:3], v13, v3, 0
	v_add_co_u32_e32 v3, vcc, v15, v10
	v_addc_co_u32_e32 v3, vcc, v16, v11, vcc
	v_addc_co_u32_e32 v9, vcc, 0, v9, vcc
	v_add_co_u32_e32 v3, vcc, v3, v8
	v_addc_co_u32_e32 v10, vcc, 0, v9, vcc
	v_mul_lo_u32 v11, s39, v3
	v_mul_lo_u32 v15, s38, v10
	v_mad_u64_u32 v[8:9], s[2:3], s38, v3, 0
	v_add3_u32 v9, v9, v15, v11
	v_sub_u32_e32 v11, v13, v9
	v_mov_b32_e32 v15, s39
	v_sub_co_u32_e32 v8, vcc, v14, v8
	v_subb_co_u32_e64 v11, s[2:3], v11, v15, vcc
	v_subrev_co_u32_e64 v14, s[2:3], s38, v8
	v_subbrev_co_u32_e64 v11, s[2:3], 0, v11, s[2:3]
	v_cmp_le_u32_e64 s[2:3], s39, v11
	v_cndmask_b32_e64 v15, 0, -1, s[2:3]
	v_cmp_le_u32_e64 s[2:3], s38, v14
	v_cndmask_b32_e64 v14, 0, -1, s[2:3]
	v_cmp_eq_u32_e64 s[2:3], s39, v11
	v_cndmask_b32_e64 v11, v15, v14, s[2:3]
	v_add_co_u32_e64 v14, s[2:3], 2, v3
	v_subb_co_u32_e32 v9, vcc, v13, v9, vcc
	v_addc_co_u32_e64 v15, s[2:3], 0, v10, s[2:3]
	v_cmp_le_u32_e32 vcc, s39, v9
	v_add_co_u32_e64 v16, s[2:3], 1, v3
	v_cndmask_b32_e64 v13, 0, -1, vcc
	v_cmp_le_u32_e32 vcc, s38, v8
	v_addc_co_u32_e64 v17, s[2:3], 0, v10, s[2:3]
	v_cndmask_b32_e64 v8, 0, -1, vcc
	v_cmp_eq_u32_e32 vcc, s39, v9
	v_cmp_ne_u32_e64 s[2:3], 0, v11
	v_cndmask_b32_e32 v8, v13, v8, vcc
	v_cmp_ne_u32_e32 vcc, 0, v8
	v_cndmask_b32_e64 v9, v16, v14, s[2:3]
	v_cndmask_b32_e64 v11, v17, v15, s[2:3]
	v_cndmask_b32_e32 v3, v3, v9, vcc
	v_xor_b32_e32 v9, s36, v12
	v_cndmask_b32_e32 v8, v10, v11, vcc
	v_xor_b32_e32 v3, v3, v9
	v_xor_b32_e32 v10, v8, v9
	v_sub_co_u32_e32 v8, vcc, v3, v9
	v_subb_co_u32_e32 v9, vcc, v10, v9, vcc
.LBB13_7:                               ;   in Loop: Header=BB13_5 Depth=2
	s_andn2_saveexec_b64 s[2:3], s[34:35]
	s_cbranch_execz .LBB13_9
; %bb.8:                                ;   in Loop: Header=BB13_5 Depth=2
	v_cvt_f32_u32_e32 v3, s30
	s_sub_i32 s34, 0, s30
	v_rcp_iflag_f32_e32 v3, v3
	v_mul_f32_e32 v3, 0x4f7ffffe, v3
	v_cvt_u32_f32_e32 v3, v3
	v_mul_lo_u32 v8, s34, v3
	v_mul_hi_u32 v8, v3, v8
	v_add_u32_e32 v3, v3, v8
	v_mul_hi_u32 v3, v6, v3
	v_mul_lo_u32 v8, v3, s30
	v_sub_u32_e32 v8, v6, v8
	v_add_u32_e32 v9, 1, v3
	v_subrev_u32_e32 v10, s30, v8
	v_cmp_le_u32_e32 vcc, s30, v8
	v_cndmask_b32_e32 v8, v8, v10, vcc
	v_cndmask_b32_e32 v3, v3, v9, vcc
	v_add_u32_e32 v9, 1, v3
	v_cmp_le_u32_e32 vcc, s30, v8
	v_cndmask_b32_e32 v8, v3, v9, vcc
	v_mov_b32_e32 v9, v2
.LBB13_9:                               ;   in Loop: Header=BB13_5 Depth=2
	s_or_b64 exec, exec, s[2:3]
	v_mad_u64_u32 v[10:11], s[2:3], v8, s30, 0
	s_load_dwordx2 s[2:3], s[28:29], 0xc8
	v_mul_lo_u32 v3, v9, s30
	v_mul_lo_u32 v12, v8, s31
	v_add3_u32 v3, v11, v12, v3
	v_sub_co_u32_e32 v6, vcc, v6, v10
	s_add_i32 s44, s44, -1
	v_subb_co_u32_e32 v3, vcc, v7, v3, vcc
	s_add_u32 s28, s28, -8
	s_waitcnt lgkmcnt(0)
	v_mul_lo_u32 v3, s2, v3
	v_mul_lo_u32 v7, s3, v6
	v_mad_u64_u32 v[4:5], s[2:3], s2, v6, v[4:5]
	s_addc_u32 s29, s29, -1
	s_cmp_gt_u32 s44, 2
	v_add3_u32 v5, v7, v5, v3
	s_cbranch_scc0 .LBB13_11
; %bb.10:                               ;   in Loop: Header=BB13_5 Depth=2
	v_pk_mov_b32 v[6:7], v[8:9], v[8:9] op_sel:[0,1]
	s_branch .LBB13_5
.LBB13_11:                              ;   in Loop: Header=BB13_4 Depth=1
	s_waitcnt lgkmcnt(0)
	v_pk_mov_b32 v[6:7], s[24:25], s[24:25] op_sel:[0,1]
	v_mad_u64_u32 v[6:7], s[2:3], s22, v8, v[6:7]
	v_mul_lo_u32 v3, s22, v9
	v_mul_lo_u32 v8, s23, v8
	v_add3_u32 v3, v8, v7, v3
	v_add_co_u32_e32 v4, vcc, v6, v4
	v_addc_co_u32_e32 v5, vcc, v3, v5, vcc
	global_load_sbyte v3, v[4:5], off
	s_waitcnt vmcnt(0)
	v_bfe_i32 v4, v3, 0, 16
	v_ashrrev_i32_e32 v5, 31, v4
	v_cmp_le_i64_e32 vcc, s[10:11], v[4:5]
	v_cmp_ge_i64_e64 s[2:3], s[12:13], v[4:5]
	s_and_b64 s[2:3], vcc, s[2:3]
	s_and_saveexec_b64 s[28:29], s[2:3]
	s_cbranch_execz .LBB13_3
; %bb.12:                               ;   in Loop: Header=BB13_4 Depth=1
	v_mov_b32_e32 v3, s11
	v_subrev_co_u32_e32 v4, vcc, s10, v4
	v_subb_co_u32_e32 v3, vcc, v5, v3, vcc
	v_mul_lo_u32 v3, v3, s8
	v_mul_lo_u32 v6, v4, s9
	v_mad_u64_u32 v[4:5], s[2:3], v4, s8, 0
	v_add3_u32 v5, v5, v6, v3
	v_or_b32_e32 v3, s40, v5
	v_cmp_ne_u64_e32 vcc, 0, v[2:3]
                                        ; implicit-def: $vgpr6_vgpr7
	s_and_saveexec_b64 s[2:3], vcc
	s_xor_b64 s[30:31], exec, s[2:3]
	s_cbranch_execz .LBB13_14
; %bb.13:                               ;   in Loop: Header=BB13_4 Depth=1
	s_ashr_i32 s34, s40, 31
	s_add_u32 s2, s33, s34
	s_mov_b32 s35, s34
	s_addc_u32 s3, s40, s34
	s_xor_b64 s[36:37], s[2:3], s[34:35]
	v_cvt_f32_u32_e32 v3, s36
	v_cvt_f32_u32_e32 v6, s37
	s_sub_u32 s2, 0, s36
	s_subb_u32 s3, 0, s37
	v_mac_f32_e32 v3, 0x4f800000, v6
	v_rcp_f32_e32 v3, v3
	v_mul_f32_e32 v3, 0x5f7ffffc, v3
	v_mul_f32_e32 v6, 0x2f800000, v3
	v_trunc_f32_e32 v6, v6
	v_mac_f32_e32 v3, 0xcf800000, v6
	v_cvt_u32_f32_e32 v6, v6
	v_cvt_u32_f32_e32 v3, v3
	v_mul_lo_u32 v7, s2, v6
	v_mul_hi_u32 v9, s2, v3
	v_mul_lo_u32 v8, s3, v3
	v_add_u32_e32 v7, v9, v7
	v_mul_lo_u32 v10, s2, v3
	v_add_u32_e32 v7, v7, v8
	v_mul_lo_u32 v9, v3, v7
	v_mul_hi_u32 v11, v3, v10
	v_mul_hi_u32 v8, v3, v7
	v_add_co_u32_e32 v9, vcc, v11, v9
	v_addc_co_u32_e32 v8, vcc, 0, v8, vcc
	v_mul_hi_u32 v12, v6, v10
	v_mul_lo_u32 v10, v6, v10
	v_add_co_u32_e32 v9, vcc, v9, v10
	v_mul_hi_u32 v11, v6, v7
	v_addc_co_u32_e32 v8, vcc, v8, v12, vcc
	v_addc_co_u32_e32 v9, vcc, 0, v11, vcc
	v_mul_lo_u32 v7, v6, v7
	v_add_co_u32_e32 v7, vcc, v8, v7
	v_addc_co_u32_e32 v8, vcc, 0, v9, vcc
	v_add_co_u32_e32 v3, vcc, v3, v7
	v_addc_co_u32_e32 v6, vcc, v6, v8, vcc
	v_mul_lo_u32 v7, s2, v6
	v_mul_hi_u32 v8, s2, v3
	v_add_u32_e32 v7, v8, v7
	v_mul_lo_u32 v8, s3, v3
	v_add_u32_e32 v7, v7, v8
	v_mul_lo_u32 v9, s2, v3
	v_mul_hi_u32 v10, v6, v9
	v_mul_lo_u32 v11, v6, v9
	v_mul_lo_u32 v13, v3, v7
	v_mul_hi_u32 v9, v3, v9
	v_mul_hi_u32 v12, v3, v7
	v_add_co_u32_e32 v9, vcc, v9, v13
	v_addc_co_u32_e32 v12, vcc, 0, v12, vcc
	v_add_co_u32_e32 v9, vcc, v9, v11
	v_mul_hi_u32 v8, v6, v7
	v_addc_co_u32_e32 v9, vcc, v12, v10, vcc
	v_addc_co_u32_e32 v8, vcc, 0, v8, vcc
	v_mul_lo_u32 v7, v6, v7
	v_add_co_u32_e32 v7, vcc, v9, v7
	v_addc_co_u32_e32 v8, vcc, 0, v8, vcc
	v_add_co_u32_e32 v3, vcc, v3, v7
	v_addc_co_u32_e32 v6, vcc, v6, v8, vcc
	v_ashrrev_i32_e32 v8, 31, v5
	v_add_co_u32_e32 v4, vcc, v4, v8
	v_addc_co_u32_e32 v5, vcc, v5, v8, vcc
	v_xor_b32_e32 v10, v4, v8
	v_xor_b32_e32 v9, v5, v8
	v_mad_u64_u32 v[4:5], s[2:3], v10, v6, 0
	v_mul_hi_u32 v7, v10, v3
	v_add_co_u32_e32 v11, vcc, v7, v4
	v_addc_co_u32_e32 v12, vcc, 0, v5, vcc
	v_mad_u64_u32 v[4:5], s[2:3], v9, v6, 0
	v_mad_u64_u32 v[6:7], s[2:3], v9, v3, 0
	v_add_co_u32_e32 v3, vcc, v11, v6
	v_addc_co_u32_e32 v3, vcc, v12, v7, vcc
	v_addc_co_u32_e32 v5, vcc, 0, v5, vcc
	v_add_co_u32_e32 v3, vcc, v3, v4
	v_addc_co_u32_e32 v4, vcc, 0, v5, vcc
	v_mul_lo_u32 v6, s37, v3
	v_mul_lo_u32 v7, s36, v4
	v_mad_u64_u32 v[4:5], s[2:3], s36, v3, 0
	v_add3_u32 v5, v5, v7, v6
	v_sub_u32_e32 v6, v9, v5
	v_mov_b32_e32 v7, s37
	v_sub_co_u32_e32 v4, vcc, v10, v4
	v_subb_co_u32_e64 v6, s[2:3], v6, v7, vcc
	v_subrev_co_u32_e64 v7, s[2:3], s36, v4
	v_subbrev_co_u32_e64 v6, s[2:3], 0, v6, s[2:3]
	v_cmp_le_u32_e64 s[2:3], s37, v6
	v_subb_co_u32_e32 v5, vcc, v9, v5, vcc
	v_cndmask_b32_e64 v10, 0, -1, s[2:3]
	v_cmp_le_u32_e64 s[2:3], s36, v7
	v_cmp_le_u32_e32 vcc, s37, v5
	v_cndmask_b32_e64 v7, 0, -1, s[2:3]
	v_cmp_eq_u32_e64 s[2:3], s37, v6
	v_cndmask_b32_e64 v9, 0, -1, vcc
	v_cmp_le_u32_e32 vcc, s36, v4
	v_cndmask_b32_e64 v6, v10, v7, s[2:3]
	v_cndmask_b32_e64 v4, 0, -1, vcc
	v_cmp_eq_u32_e32 vcc, s37, v5
	v_add_co_u32_e64 v7, s[2:3], 2, v3
	v_add_co_u32_e64 v10, s[2:3], 1, v3
	v_cndmask_b32_e32 v4, v9, v4, vcc
	v_cmp_ne_u32_e32 vcc, 0, v6
	v_cndmask_b32_e32 v5, v10, v7, vcc
	v_cmp_ne_u32_e32 vcc, 0, v4
	v_cndmask_b32_e32 v3, v3, v5, vcc
	v_xor_b32_e32 v4, s34, v8
	v_xor_b32_e32 v3, v3, v4
	v_sub_co_u32_e32 v6, vcc, v3, v4
                                        ; implicit-def: $vgpr4_vgpr5
.LBB13_14:                              ;   in Loop: Header=BB13_4 Depth=1
	s_andn2_saveexec_b64 s[2:3], s[30:31]
	s_cbranch_execz .LBB13_2
; %bb.15:                               ;   in Loop: Header=BB13_4 Depth=1
	v_cvt_f32_u32_e32 v3, s33
	s_sub_i32 s30, 0, s33
	v_rcp_iflag_f32_e32 v3, v3
	v_mul_f32_e32 v3, 0x4f7ffffe, v3
	v_cvt_u32_f32_e32 v3, v3
	v_mul_lo_u32 v5, s30, v3
	v_mul_hi_u32 v5, v3, v5
	v_add_u32_e32 v3, v3, v5
	v_mul_hi_u32 v3, v4, v3
	v_mul_lo_u32 v5, v3, s33
	v_sub_u32_e32 v4, v4, v5
	v_add_u32_e32 v6, 1, v3
	v_subrev_u32_e32 v5, s33, v4
	v_cmp_le_u32_e32 vcc, s33, v4
	v_cndmask_b32_e32 v4, v4, v5, vcc
	v_cndmask_b32_e32 v3, v3, v6, vcc
	v_add_u32_e32 v5, 1, v3
	v_cmp_le_u32_e32 vcc, s33, v4
	v_cndmask_b32_e32 v6, v3, v5, vcc
	s_branch .LBB13_2
.LBB13_16:
	s_endpgm
	.section	.rodata,"a",@progbits
	.p2align	6, 0x0
	.amdhsa_kernel _ZN2at4cuda17kernelHistogram1DIfalLi1ELi2ELin1ELNS0_23CUDAHistogramMemoryTypeE1EZNS0_21CUDA_tensor_histogramIfaLb1EEEbNS_6TensorES4_S4_lNS_14AccumulateTypeIT0_Lb1EE4typeES8_NS0_13TensorArgTypeES9_S9_EUllE_EEvNS0_6detail10TensorInfoIT_T1_EESF_NSC_IKS6_SE_EElS8_S8_SE_T6_
		.amdhsa_group_segment_fixed_size 0
		.amdhsa_private_segment_fixed_size 0
		.amdhsa_kernarg_size 1952
		.amdhsa_user_sgpr_count 6
		.amdhsa_user_sgpr_private_segment_buffer 1
		.amdhsa_user_sgpr_dispatch_ptr 0
		.amdhsa_user_sgpr_queue_ptr 0
		.amdhsa_user_sgpr_kernarg_segment_ptr 1
		.amdhsa_user_sgpr_dispatch_id 0
		.amdhsa_user_sgpr_flat_scratch_init 0
		.amdhsa_user_sgpr_kernarg_preload_length 0
		.amdhsa_user_sgpr_kernarg_preload_offset 0
		.amdhsa_user_sgpr_private_segment_size 0
		.amdhsa_uses_dynamic_stack 0
		.amdhsa_system_sgpr_private_segment_wavefront_offset 0
		.amdhsa_system_sgpr_workgroup_id_x 1
		.amdhsa_system_sgpr_workgroup_id_y 0
		.amdhsa_system_sgpr_workgroup_id_z 0
		.amdhsa_system_sgpr_workgroup_info 0
		.amdhsa_system_vgpr_workitem_id 0
		.amdhsa_next_free_vgpr 18
		.amdhsa_next_free_sgpr 45
		.amdhsa_accum_offset 20
		.amdhsa_reserve_vcc 1
		.amdhsa_reserve_flat_scratch 0
		.amdhsa_float_round_mode_32 0
		.amdhsa_float_round_mode_16_64 0
		.amdhsa_float_denorm_mode_32 3
		.amdhsa_float_denorm_mode_16_64 3
		.amdhsa_dx10_clamp 1
		.amdhsa_ieee_mode 1
		.amdhsa_fp16_overflow 0
		.amdhsa_tg_split 0
		.amdhsa_exception_fp_ieee_invalid_op 0
		.amdhsa_exception_fp_denorm_src 0
		.amdhsa_exception_fp_ieee_div_zero 0
		.amdhsa_exception_fp_ieee_overflow 0
		.amdhsa_exception_fp_ieee_underflow 0
		.amdhsa_exception_fp_ieee_inexact 0
		.amdhsa_exception_int_div_zero 0
	.end_amdhsa_kernel
	.section	.text._ZN2at4cuda17kernelHistogram1DIfalLi1ELi2ELin1ELNS0_23CUDAHistogramMemoryTypeE1EZNS0_21CUDA_tensor_histogramIfaLb1EEEbNS_6TensorES4_S4_lNS_14AccumulateTypeIT0_Lb1EE4typeES8_NS0_13TensorArgTypeES9_S9_EUllE_EEvNS0_6detail10TensorInfoIT_T1_EESF_NSC_IKS6_SE_EElS8_S8_SE_T6_,"axG",@progbits,_ZN2at4cuda17kernelHistogram1DIfalLi1ELi2ELin1ELNS0_23CUDAHistogramMemoryTypeE1EZNS0_21CUDA_tensor_histogramIfaLb1EEEbNS_6TensorES4_S4_lNS_14AccumulateTypeIT0_Lb1EE4typeES8_NS0_13TensorArgTypeES9_S9_EUllE_EEvNS0_6detail10TensorInfoIT_T1_EESF_NSC_IKS6_SE_EElS8_S8_SE_T6_,comdat
.Lfunc_end13:
	.size	_ZN2at4cuda17kernelHistogram1DIfalLi1ELi2ELin1ELNS0_23CUDAHistogramMemoryTypeE1EZNS0_21CUDA_tensor_histogramIfaLb1EEEbNS_6TensorES4_S4_lNS_14AccumulateTypeIT0_Lb1EE4typeES8_NS0_13TensorArgTypeES9_S9_EUllE_EEvNS0_6detail10TensorInfoIT_T1_EESF_NSC_IKS6_SE_EElS8_S8_SE_T6_, .Lfunc_end13-_ZN2at4cuda17kernelHistogram1DIfalLi1ELi2ELin1ELNS0_23CUDAHistogramMemoryTypeE1EZNS0_21CUDA_tensor_histogramIfaLb1EEEbNS_6TensorES4_S4_lNS_14AccumulateTypeIT0_Lb1EE4typeES8_NS0_13TensorArgTypeES9_S9_EUllE_EEvNS0_6detail10TensorInfoIT_T1_EESF_NSC_IKS6_SE_EElS8_S8_SE_T6_
                                        ; -- End function
	.section	.AMDGPU.csdata,"",@progbits
; Kernel info:
; codeLenInByte = 2280
; NumSgprs: 49
; NumVgprs: 18
; NumAgprs: 0
; TotalNumVgprs: 18
; ScratchSize: 0
; MemoryBound: 0
; FloatMode: 240
; IeeeMode: 1
; LDSByteSize: 0 bytes/workgroup (compile time only)
; SGPRBlocks: 6
; VGPRBlocks: 2
; NumSGPRsForWavesPerEU: 49
; NumVGPRsForWavesPerEU: 18
; AccumOffset: 20
; Occupancy: 8
; WaveLimiterHint : 1
; COMPUTE_PGM_RSRC2:SCRATCH_EN: 0
; COMPUTE_PGM_RSRC2:USER_SGPR: 6
; COMPUTE_PGM_RSRC2:TRAP_HANDLER: 0
; COMPUTE_PGM_RSRC2:TGID_X_EN: 1
; COMPUTE_PGM_RSRC2:TGID_Y_EN: 0
; COMPUTE_PGM_RSRC2:TGID_Z_EN: 0
; COMPUTE_PGM_RSRC2:TIDIG_COMP_CNT: 0
; COMPUTE_PGM_RSRC3_GFX90A:ACCUM_OFFSET: 4
; COMPUTE_PGM_RSRC3_GFX90A:TG_SPLIT: 0
	.section	.text._ZN2at4cuda17kernelHistogram1DIfalLi1ELi2ELin1ELNS0_23CUDAHistogramMemoryTypeE0EZNS0_21CUDA_tensor_histogramIfaLb1EEEbNS_6TensorES4_S4_lNS_14AccumulateTypeIT0_Lb1EE4typeES8_NS0_13TensorArgTypeES9_S9_EUllE0_EEvNS0_6detail10TensorInfoIT_T1_EESF_NSC_IKS6_SE_EElS8_S8_SE_T6_,"axG",@progbits,_ZN2at4cuda17kernelHistogram1DIfalLi1ELi2ELin1ELNS0_23CUDAHistogramMemoryTypeE0EZNS0_21CUDA_tensor_histogramIfaLb1EEEbNS_6TensorES4_S4_lNS_14AccumulateTypeIT0_Lb1EE4typeES8_NS0_13TensorArgTypeES9_S9_EUllE0_EEvNS0_6detail10TensorInfoIT_T1_EESF_NSC_IKS6_SE_EElS8_S8_SE_T6_,comdat
	.protected	_ZN2at4cuda17kernelHistogram1DIfalLi1ELi2ELin1ELNS0_23CUDAHistogramMemoryTypeE0EZNS0_21CUDA_tensor_histogramIfaLb1EEEbNS_6TensorES4_S4_lNS_14AccumulateTypeIT0_Lb1EE4typeES8_NS0_13TensorArgTypeES9_S9_EUllE0_EEvNS0_6detail10TensorInfoIT_T1_EESF_NSC_IKS6_SE_EElS8_S8_SE_T6_ ; -- Begin function _ZN2at4cuda17kernelHistogram1DIfalLi1ELi2ELin1ELNS0_23CUDAHistogramMemoryTypeE0EZNS0_21CUDA_tensor_histogramIfaLb1EEEbNS_6TensorES4_S4_lNS_14AccumulateTypeIT0_Lb1EE4typeES8_NS0_13TensorArgTypeES9_S9_EUllE0_EEvNS0_6detail10TensorInfoIT_T1_EESF_NSC_IKS6_SE_EElS8_S8_SE_T6_
	.globl	_ZN2at4cuda17kernelHistogram1DIfalLi1ELi2ELin1ELNS0_23CUDAHistogramMemoryTypeE0EZNS0_21CUDA_tensor_histogramIfaLb1EEEbNS_6TensorES4_S4_lNS_14AccumulateTypeIT0_Lb1EE4typeES8_NS0_13TensorArgTypeES9_S9_EUllE0_EEvNS0_6detail10TensorInfoIT_T1_EESF_NSC_IKS6_SE_EElS8_S8_SE_T6_
	.p2align	8
	.type	_ZN2at4cuda17kernelHistogram1DIfalLi1ELi2ELin1ELNS0_23CUDAHistogramMemoryTypeE0EZNS0_21CUDA_tensor_histogramIfaLb1EEEbNS_6TensorES4_S4_lNS_14AccumulateTypeIT0_Lb1EE4typeES8_NS0_13TensorArgTypeES9_S9_EUllE0_EEvNS0_6detail10TensorInfoIT_T1_EESF_NSC_IKS6_SE_EElS8_S8_SE_T6_,@function
_ZN2at4cuda17kernelHistogram1DIfalLi1ELi2ELin1ELNS0_23CUDAHistogramMemoryTypeE0EZNS0_21CUDA_tensor_histogramIfaLb1EEEbNS_6TensorES4_S4_lNS_14AccumulateTypeIT0_Lb1EE4typeES8_NS0_13TensorArgTypeES9_S9_EUllE0_EEvNS0_6detail10TensorInfoIT_T1_EESF_NSC_IKS6_SE_EElS8_S8_SE_T6_: ; @_ZN2at4cuda17kernelHistogram1DIfalLi1ELi2ELin1ELNS0_23CUDAHistogramMemoryTypeE0EZNS0_21CUDA_tensor_histogramIfaLb1EEEbNS_6TensorES4_S4_lNS_14AccumulateTypeIT0_Lb1EE4typeES8_NS0_13TensorArgTypeES9_S9_EUllE0_EEvNS0_6detail10TensorInfoIT_T1_EESF_NSC_IKS6_SE_EElS8_S8_SE_T6_
; %bb.0:
	s_load_dwordx4 s[16:19], s[4:5], 0x0
	v_mov_b32_e32 v1, 0
	s_add_u32 s22, s4, 0x508
	s_addc_u32 s23, s5, 0
                                        ; implicit-def: $sgpr7
	s_waitcnt lgkmcnt(0)
	v_cmp_gt_i64_e64 s[0:1], s[18:19], v[0:1]
	v_cmp_le_i64_e32 vcc, s[18:19], v[0:1]
	s_and_saveexec_b64 s[2:3], vcc
	s_xor_b64 s[2:3], exec, s[2:3]
	s_cbranch_execz .LBB14_2
; %bb.1:
	s_load_dword s7, s[22:23], 0xc
.LBB14_2:
	s_or_saveexec_b64 s[8:9], s[2:3]
	s_load_dwordx2 s[20:21], s[4:5], 0xd0
	s_waitcnt lgkmcnt(0)
	v_mov_b32_e32 v4, s7
	s_xor_b64 exec, exec, s[8:9]
	s_cbranch_execz .LBB14_16
; %bb.3:
	s_load_dword s7, s[22:23], 0xc
	v_mov_b32_e32 v2, s19
	s_mov_b32 s13, 0
	s_waitcnt lgkmcnt(0)
	s_and_b32 s12, s7, 0xffff
	v_add_co_u32_e32 v4, vcc, s12, v0
	v_addc_co_u32_e64 v5, s[2:3], 0, 0, vcc
	v_cmp_gt_i64_e32 vcc, s[18:19], v[4:5]
	v_cndmask_b32_e32 v6, v5, v2, vcc
	v_mov_b32_e32 v2, s18
	v_cndmask_b32_e32 v3, v4, v2, vcc
	v_cndmask_b32_e64 v2, 0, 1, vcc
	v_add_co_u32_e32 v4, vcc, v4, v2
	v_addc_co_u32_e32 v5, vcc, 0, v5, vcc
	v_sub_co_u32_e32 v3, vcc, v3, v4
	v_subb_co_u32_e32 v5, vcc, v6, v5, vcc
	v_mov_b32_e32 v4, 0
	v_cmp_ne_u64_e32 vcc, 0, v[4:5]
                                        ; implicit-def: $vgpr6_vgpr7
	s_and_saveexec_b64 s[2:3], vcc
	s_xor_b64 s[10:11], exec, s[2:3]
	s_cbranch_execz .LBB14_5
; %bb.4:
	v_cvt_f32_u32_e32 v4, s12
	v_mov_b32_e32 v6, 0x4f800000
	s_sub_u32 s2, 0, s12
	s_subb_u32 s3, 0, 0
	v_mac_f32_e32 v4, 0, v6
	v_rcp_f32_e32 v4, v4
	v_mul_f32_e32 v4, 0x5f7ffffc, v4
	v_mul_f32_e32 v6, 0x2f800000, v4
	v_trunc_f32_e32 v6, v6
	v_madmk_f32 v4, v6, 0xcf800000, v4
	v_cvt_u32_f32_e32 v6, v6
	v_cvt_u32_f32_e32 v4, v4
	v_mul_lo_u32 v7, s2, v6
	v_mul_hi_u32 v9, s2, v4
	v_mul_lo_u32 v8, s3, v4
	v_add_u32_e32 v7, v9, v7
	v_mul_lo_u32 v10, s2, v4
	v_add_u32_e32 v7, v7, v8
	v_mul_hi_u32 v9, v4, v10
	v_mul_lo_u32 v11, v4, v7
	v_mul_hi_u32 v8, v4, v7
	v_add_co_u32_e32 v9, vcc, v9, v11
	v_addc_co_u32_e32 v8, vcc, 0, v8, vcc
	v_mul_hi_u32 v12, v6, v10
	v_mul_lo_u32 v10, v6, v10
	v_add_co_u32_e32 v9, vcc, v9, v10
	v_mul_hi_u32 v11, v6, v7
	v_addc_co_u32_e32 v8, vcc, v8, v12, vcc
	v_addc_co_u32_e32 v9, vcc, 0, v11, vcc
	v_mul_lo_u32 v7, v6, v7
	v_add_co_u32_e32 v7, vcc, v8, v7
	v_addc_co_u32_e32 v8, vcc, 0, v9, vcc
	v_add_co_u32_e32 v4, vcc, v4, v7
	v_addc_co_u32_e32 v6, vcc, v6, v8, vcc
	v_mul_lo_u32 v7, s2, v6
	v_mul_hi_u32 v8, s2, v4
	v_add_u32_e32 v7, v8, v7
	v_mul_lo_u32 v8, s3, v4
	v_add_u32_e32 v7, v7, v8
	v_mul_lo_u32 v9, s2, v4
	v_mul_hi_u32 v10, v6, v9
	v_mul_lo_u32 v11, v6, v9
	v_mul_lo_u32 v13, v4, v7
	v_mul_hi_u32 v9, v4, v9
	v_mul_hi_u32 v12, v4, v7
	v_add_co_u32_e32 v9, vcc, v9, v13
	v_addc_co_u32_e32 v12, vcc, 0, v12, vcc
	v_add_co_u32_e32 v9, vcc, v9, v11
	v_mul_hi_u32 v8, v6, v7
	v_addc_co_u32_e32 v9, vcc, v12, v10, vcc
	v_addc_co_u32_e32 v8, vcc, 0, v8, vcc
	v_mul_lo_u32 v7, v6, v7
	v_add_co_u32_e32 v7, vcc, v9, v7
	v_addc_co_u32_e32 v8, vcc, 0, v8, vcc
	v_add_co_u32_e32 v4, vcc, v4, v7
	v_addc_co_u32_e32 v8, vcc, v6, v8, vcc
	v_mad_u64_u32 v[6:7], s[2:3], v3, v8, 0
	v_mul_hi_u32 v9, v3, v4
	v_add_co_u32_e32 v10, vcc, v9, v6
	v_addc_co_u32_e32 v11, vcc, 0, v7, vcc
	v_mad_u64_u32 v[6:7], s[2:3], v5, v8, 0
	v_mad_u64_u32 v[8:9], s[2:3], v5, v4, 0
	v_add_co_u32_e32 v4, vcc, v10, v8
	v_addc_co_u32_e32 v4, vcc, v11, v9, vcc
	v_addc_co_u32_e32 v7, vcc, 0, v7, vcc
	v_add_co_u32_e32 v10, vcc, v4, v6
	v_addc_co_u32_e32 v11, vcc, 0, v7, vcc
	v_mad_u64_u32 v[6:7], s[2:3], s12, v10, 0
	v_mov_b32_e32 v4, v7
	v_mad_u64_u32 v[8:9], s[2:3], s12, v11, v[4:5]
	v_sub_co_u32_e32 v3, vcc, v3, v6
	v_subb_co_u32_e32 v4, vcc, v5, v8, vcc
	v_subrev_co_u32_e32 v5, vcc, s12, v3
	v_subbrev_co_u32_e32 v6, vcc, 0, v4, vcc
	v_cmp_le_u32_e32 vcc, s12, v5
	v_cndmask_b32_e64 v5, 0, -1, vcc
	v_cmp_eq_u32_e32 vcc, 0, v6
	v_cndmask_b32_e32 v5, -1, v5, vcc
	v_add_co_u32_e32 v6, vcc, 2, v10
	v_addc_co_u32_e32 v7, vcc, 0, v11, vcc
	v_add_co_u32_e32 v8, vcc, 1, v10
	v_cmp_le_u32_e64 s[2:3], s12, v3
	v_addc_co_u32_e32 v9, vcc, 0, v11, vcc
	v_cndmask_b32_e64 v3, 0, -1, s[2:3]
	v_cmp_eq_u32_e64 s[2:3], 0, v4
	v_cmp_ne_u32_e32 vcc, 0, v5
	v_cndmask_b32_e64 v3, -1, v3, s[2:3]
	v_cndmask_b32_e32 v5, v9, v7, vcc
	v_cmp_ne_u32_e64 s[2:3], 0, v3
	v_cndmask_b32_e32 v3, v8, v6, vcc
	v_cndmask_b32_e64 v7, v11, v5, s[2:3]
	v_cndmask_b32_e64 v6, v10, v3, s[2:3]
                                        ; implicit-def: $vgpr3
.LBB14_5:
	s_andn2_saveexec_b64 s[2:3], s[10:11]
	s_cbranch_execz .LBB14_7
; %bb.6:
	v_cvt_f32_u32_e32 v4, s12
	s_sub_i32 s10, 0, s12
	v_mov_b32_e32 v7, 0
	v_rcp_iflag_f32_e32 v4, v4
	v_mul_f32_e32 v4, 0x4f7ffffe, v4
	v_cvt_u32_f32_e32 v4, v4
	v_mul_lo_u32 v5, s10, v4
	v_mul_hi_u32 v5, v4, v5
	v_add_u32_e32 v4, v4, v5
	v_mul_hi_u32 v4, v3, v4
	v_mul_lo_u32 v5, v4, s12
	v_sub_u32_e32 v3, v3, v5
	v_add_u32_e32 v6, 1, v4
	v_subrev_u32_e32 v5, s12, v3
	v_cmp_le_u32_e32 vcc, s12, v3
	v_cndmask_b32_e32 v3, v3, v5, vcc
	v_cndmask_b32_e32 v4, v4, v6, vcc
	v_add_u32_e32 v5, 1, v4
	v_cmp_le_u32_e32 vcc, s12, v3
	v_cndmask_b32_e32 v6, v4, v5, vcc
.LBB14_7:
	s_or_b64 exec, exec, s[2:3]
	v_add_co_u32_e32 v2, vcc, v6, v2
	v_addc_co_u32_e32 v3, vcc, 0, v7, vcc
	v_add_co_u32_e32 v4, vcc, 1, v2
	v_addc_co_u32_e32 v5, vcc, 0, v3, vcc
	v_cmp_lt_u64_e32 vcc, 1, v[4:5]
	v_cmp_eq_u16_e64 s[2:3], s7, 1
	s_and_b64 s[24:25], vcc, s[2:3]
	s_mov_b64 s[10:11], -1
	v_pk_mov_b32 v[2:3], v[0:1], v[0:1] op_sel:[0,1]
                                        ; implicit-def: $sgpr14
	s_and_saveexec_b64 s[2:3], s[24:25]
	s_cbranch_execz .LBB14_11
; %bb.8:
	v_and_b32_e32 v6, -2, v4
	v_mov_b32_e32 v7, v5
	v_lshl_add_u32 v8, v0, 2, 0
	s_mov_b64 s[10:11], 0
	v_mov_b32_e32 v9, 0
	v_pk_mov_b32 v[2:3], v[6:7], v[6:7] op_sel:[0,1]
.LBB14_9:                               ; =>This Inner Loop Header: Depth=1
	v_add_co_u32_e32 v2, vcc, -2, v2
	v_addc_co_u32_e32 v3, vcc, -1, v3, vcc
	v_cmp_eq_u64_e32 vcc, 0, v[2:3]
	ds_write2_b32 v8, v9, v9 offset1:1
	s_or_b64 s[10:11], vcc, s[10:11]
	v_add_u32_e32 v8, 8, v8
	s_andn2_b64 exec, exec, s[10:11]
	s_cbranch_execnz .LBB14_9
; %bb.10:
	s_or_b64 exec, exec, s[10:11]
	v_mad_u64_u32 v[2:3], s[10:11], v6, s12, v[0:1]
	v_mov_b32_e32 v8, v3
	v_mad_u64_u32 v[8:9], s[10:11], v7, s12, v[8:9]
	v_cmp_ne_u64_e32 vcc, v[4:5], v[6:7]
	v_mov_b32_e32 v3, v8
	s_mov_b32 s14, 1
	s_orn2_b64 s[10:11], vcc, exec
.LBB14_11:
	s_or_b64 exec, exec, s[2:3]
	v_mov_b32_e32 v4, s14
	s_and_saveexec_b64 s[2:3], s[10:11]
	s_cbranch_execz .LBB14_15
; %bb.12:
	v_lshl_add_u32 v4, v2, 2, 0
	s_lshl_b32 s14, s12, 2
	s_mov_b64 s[10:11], 0
	v_mov_b32_e32 v5, 0
	v_mov_b32_e32 v6, s13
.LBB14_13:                              ; =>This Inner Loop Header: Depth=1
	v_add_co_u32_e32 v2, vcc, s12, v2
	v_addc_co_u32_e32 v3, vcc, v3, v6, vcc
	v_cmp_le_i64_e32 vcc, s[18:19], v[2:3]
	ds_write_b32 v4, v5
	s_or_b64 s[10:11], vcc, s[10:11]
	v_add_u32_e32 v4, s14, v4
	s_andn2_b64 exec, exec, s[10:11]
	s_cbranch_execnz .LBB14_13
; %bb.14:
	s_or_b64 exec, exec, s[10:11]
	v_mov_b32_e32 v4, s7
.LBB14_15:
	s_or_b64 exec, exec, s[2:3]
.LBB14_16:
	s_or_b64 exec, exec, s[8:9]
	s_load_dwordx8 s[8:15], s[4:5], 0x4e0
	v_and_b32_e32 v2, 0xffff, v4
	v_mad_u64_u32 v[4:5], s[2:3], s6, v2, v[0:1]
	v_mov_b32_e32 v6, 0
	v_mov_b32_e32 v5, v6
	s_waitcnt lgkmcnt(0)
	v_cmp_gt_i64_e32 vcc, s[14:15], v[4:5]
	s_barrier
	s_waitcnt lgkmcnt(0)
                                        ; kill: def $vgpr3 killed $sgpr0 killed $exec
	s_and_saveexec_b64 s[6:7], vcc
	s_cbranch_execz .LBB14_32
; %bb.17:
	s_load_dword s26, s[4:5], 0x4d8
	s_add_u32 s27, s4, 0x340
	s_addc_u32 s29, s5, 0
	s_load_dword s28, s[22:23], 0x0
	s_load_dwordx2 s[24:25], s[4:5], 0x340
	s_waitcnt lgkmcnt(0)
	v_mul_lo_u32 v8, s28, v2
	s_load_dwordx2 s[22:23], s[4:5], 0x410
	s_cmp_gt_i32 s26, 1
	s_cselect_b64 s[2:3], -1, 0
	s_sub_u32 s33, s12, s10
	s_subb_u32 s42, s13, s11
	s_mov_b32 s5, 0
	s_add_i32 s4, s26, -1
	s_add_i32 s43, s26, 1
	s_lshl_b64 s[4:5], s[4:5], 3
	s_add_u32 s4, s4, s27
	s_addc_u32 s5, s5, s29
	s_add_u32 s26, s4, 8
	v_cndmask_b32_e64 v3, 0, 1, s[2:3]
	s_addc_u32 s27, s5, 0
	s_mov_b64 s[28:29], 0
	v_cmp_ne_u32_e64 s[2:3], 1, v3
	v_mov_b32_e32 v3, 1.0
	s_branch .LBB14_20
.LBB14_18:                              ;   in Loop: Header=BB14_20 Depth=1
	s_or_b64 exec, exec, s[4:5]
	v_ashrrev_i32_e32 v13, 31, v12
	v_cmp_eq_u64_e32 vcc, s[8:9], v[12:13]
	v_subbrev_co_u32_e32 v7, vcc, 0, v12, vcc
	v_lshl_add_u32 v7, v7, 2, 0
	ds_add_f32 v7, v3
	s_waitcnt lgkmcnt(0)
.LBB14_19:                              ;   in Loop: Header=BB14_20 Depth=1
	s_or_b64 exec, exec, s[30:31]
	v_add_co_u32_e32 v4, vcc, v4, v8
	v_addc_co_u32_e32 v5, vcc, 0, v5, vcc
	v_cmp_le_i64_e32 vcc, s[14:15], v[4:5]
	s_or_b64 s[28:29], vcc, s[28:29]
	s_andn2_b64 exec, exec, s[28:29]
	s_cbranch_execz .LBB14_32
.LBB14_20:                              ; =>This Loop Header: Depth=1
                                        ;     Child Loop BB14_21 Depth 2
	s_and_b64 vcc, exec, s[2:3]
	v_pk_mov_b32 v[10:11], 0, 0
	s_mov_b64 s[30:31], s[26:27]
	s_mov_b32 s44, s43
	v_pk_mov_b32 v[12:13], v[4:5], v[4:5] op_sel:[0,1]
	v_pk_mov_b32 v[14:15], v[4:5], v[4:5] op_sel:[0,1]
	s_cbranch_vccnz .LBB14_27
.LBB14_21:                              ;   Parent Loop BB14_20 Depth=1
                                        ; =>  This Inner Loop Header: Depth=2
	s_load_dwordx2 s[34:35], s[30:31], 0x0
                                        ; implicit-def: $vgpr14_vgpr15
	s_waitcnt lgkmcnt(0)
	v_or_b32_e32 v7, s35, v13
	v_cmp_ne_u64_e32 vcc, 0, v[6:7]
	s_and_saveexec_b64 s[4:5], vcc
	s_xor_b64 s[36:37], exec, s[4:5]
	s_cbranch_execz .LBB14_23
; %bb.22:                               ;   in Loop: Header=BB14_21 Depth=2
	s_ashr_i32 s38, s35, 31
	s_add_u32 s4, s34, s38
	s_mov_b32 s39, s38
	s_addc_u32 s5, s35, s38
	s_xor_b64 s[40:41], s[4:5], s[38:39]
	v_cvt_f32_u32_e32 v7, s40
	v_cvt_f32_u32_e32 v9, s41
	s_sub_u32 s4, 0, s40
	s_subb_u32 s5, 0, s41
	v_mac_f32_e32 v7, 0x4f800000, v9
	v_rcp_f32_e32 v7, v7
	v_mul_f32_e32 v7, 0x5f7ffffc, v7
	v_mul_f32_e32 v9, 0x2f800000, v7
	v_trunc_f32_e32 v9, v9
	v_mac_f32_e32 v7, 0xcf800000, v9
	v_cvt_u32_f32_e32 v9, v9
	v_cvt_u32_f32_e32 v7, v7
	v_mul_lo_u32 v14, s4, v9
	v_mul_hi_u32 v16, s4, v7
	v_mul_lo_u32 v15, s5, v7
	v_add_u32_e32 v14, v16, v14
	v_mul_lo_u32 v17, s4, v7
	v_add_u32_e32 v14, v14, v15
	v_mul_lo_u32 v16, v7, v14
	v_mul_hi_u32 v18, v7, v17
	v_mul_hi_u32 v15, v7, v14
	v_add_co_u32_e32 v16, vcc, v18, v16
	v_addc_co_u32_e32 v15, vcc, 0, v15, vcc
	v_mul_hi_u32 v19, v9, v17
	v_mul_lo_u32 v17, v9, v17
	v_add_co_u32_e32 v16, vcc, v16, v17
	v_mul_hi_u32 v18, v9, v14
	v_addc_co_u32_e32 v15, vcc, v15, v19, vcc
	v_addc_co_u32_e32 v16, vcc, 0, v18, vcc
	v_mul_lo_u32 v14, v9, v14
	v_add_co_u32_e32 v14, vcc, v15, v14
	v_addc_co_u32_e32 v15, vcc, 0, v16, vcc
	v_add_co_u32_e32 v7, vcc, v7, v14
	v_addc_co_u32_e32 v9, vcc, v9, v15, vcc
	v_mul_lo_u32 v14, s4, v9
	v_mul_hi_u32 v15, s4, v7
	v_add_u32_e32 v14, v15, v14
	v_mul_lo_u32 v15, s5, v7
	v_add_u32_e32 v14, v14, v15
	v_mul_lo_u32 v16, s4, v7
	v_mul_hi_u32 v17, v9, v16
	v_mul_lo_u32 v18, v9, v16
	v_mul_lo_u32 v20, v7, v14
	v_mul_hi_u32 v16, v7, v16
	v_mul_hi_u32 v19, v7, v14
	v_add_co_u32_e32 v16, vcc, v16, v20
	v_addc_co_u32_e32 v19, vcc, 0, v19, vcc
	v_add_co_u32_e32 v16, vcc, v16, v18
	v_mul_hi_u32 v15, v9, v14
	v_addc_co_u32_e32 v16, vcc, v19, v17, vcc
	v_addc_co_u32_e32 v15, vcc, 0, v15, vcc
	v_mul_lo_u32 v14, v9, v14
	v_add_co_u32_e32 v14, vcc, v16, v14
	v_addc_co_u32_e32 v15, vcc, 0, v15, vcc
	v_add_co_u32_e32 v7, vcc, v7, v14
	v_addc_co_u32_e32 v9, vcc, v9, v15, vcc
	v_ashrrev_i32_e32 v18, 31, v13
	v_add_co_u32_e32 v14, vcc, v12, v18
	v_addc_co_u32_e32 v15, vcc, v13, v18, vcc
	v_xor_b32_e32 v20, v14, v18
	v_xor_b32_e32 v19, v15, v18
	v_mad_u64_u32 v[14:15], s[4:5], v20, v9, 0
	v_mul_hi_u32 v16, v20, v7
	v_add_co_u32_e32 v21, vcc, v16, v14
	v_addc_co_u32_e32 v22, vcc, 0, v15, vcc
	v_mad_u64_u32 v[16:17], s[4:5], v19, v7, 0
	v_add_co_u32_e32 v7, vcc, v21, v16
	v_mad_u64_u32 v[14:15], s[4:5], v19, v9, 0
	v_addc_co_u32_e32 v7, vcc, v22, v17, vcc
	v_addc_co_u32_e32 v9, vcc, 0, v15, vcc
	v_add_co_u32_e32 v7, vcc, v7, v14
	v_addc_co_u32_e32 v9, vcc, 0, v9, vcc
	v_mul_lo_u32 v16, s41, v7
	v_mul_lo_u32 v17, s40, v9
	v_mad_u64_u32 v[14:15], s[4:5], s40, v7, 0
	v_add3_u32 v15, v15, v17, v16
	v_sub_u32_e32 v16, v19, v15
	v_mov_b32_e32 v17, s41
	v_sub_co_u32_e32 v14, vcc, v20, v14
	v_subb_co_u32_e64 v16, s[4:5], v16, v17, vcc
	v_subrev_co_u32_e64 v17, s[4:5], s40, v14
	v_subbrev_co_u32_e64 v16, s[4:5], 0, v16, s[4:5]
	v_cmp_le_u32_e64 s[4:5], s41, v16
	v_cndmask_b32_e64 v20, 0, -1, s[4:5]
	v_cmp_le_u32_e64 s[4:5], s40, v17
	v_cndmask_b32_e64 v17, 0, -1, s[4:5]
	v_cmp_eq_u32_e64 s[4:5], s41, v16
	v_cndmask_b32_e64 v16, v20, v17, s[4:5]
	v_add_co_u32_e64 v17, s[4:5], 2, v7
	v_subb_co_u32_e32 v15, vcc, v19, v15, vcc
	v_addc_co_u32_e64 v20, s[4:5], 0, v9, s[4:5]
	v_cmp_le_u32_e32 vcc, s41, v15
	v_add_co_u32_e64 v21, s[4:5], 1, v7
	v_cndmask_b32_e64 v19, 0, -1, vcc
	v_cmp_le_u32_e32 vcc, s40, v14
	v_addc_co_u32_e64 v22, s[4:5], 0, v9, s[4:5]
	v_cndmask_b32_e64 v14, 0, -1, vcc
	v_cmp_eq_u32_e32 vcc, s41, v15
	v_cmp_ne_u32_e64 s[4:5], 0, v16
	v_cndmask_b32_e32 v14, v19, v14, vcc
	v_cmp_ne_u32_e32 vcc, 0, v14
	v_cndmask_b32_e64 v14, v21, v17, s[4:5]
	v_cndmask_b32_e64 v16, v22, v20, s[4:5]
	v_cndmask_b32_e32 v7, v7, v14, vcc
	v_xor_b32_e32 v15, s38, v18
	v_cndmask_b32_e32 v9, v9, v16, vcc
	v_xor_b32_e32 v7, v7, v15
	v_xor_b32_e32 v9, v9, v15
	v_sub_co_u32_e32 v14, vcc, v7, v15
	v_subb_co_u32_e32 v15, vcc, v9, v15, vcc
.LBB14_23:                              ;   in Loop: Header=BB14_21 Depth=2
	s_andn2_saveexec_b64 s[4:5], s[36:37]
	s_cbranch_execz .LBB14_25
; %bb.24:                               ;   in Loop: Header=BB14_21 Depth=2
	v_cvt_f32_u32_e32 v7, s34
	s_sub_i32 s36, 0, s34
	v_rcp_iflag_f32_e32 v7, v7
	v_mul_f32_e32 v7, 0x4f7ffffe, v7
	v_cvt_u32_f32_e32 v7, v7
	v_mul_lo_u32 v9, s36, v7
	v_mul_hi_u32 v9, v7, v9
	v_add_u32_e32 v7, v7, v9
	v_mul_hi_u32 v7, v12, v7
	v_mul_lo_u32 v9, v7, s34
	v_sub_u32_e32 v9, v12, v9
	v_add_u32_e32 v14, 1, v7
	v_subrev_u32_e32 v15, s34, v9
	v_cmp_le_u32_e32 vcc, s34, v9
	v_cndmask_b32_e32 v9, v9, v15, vcc
	v_cndmask_b32_e32 v7, v7, v14, vcc
	v_add_u32_e32 v14, 1, v7
	v_cmp_le_u32_e32 vcc, s34, v9
	v_cndmask_b32_e32 v14, v7, v14, vcc
	v_mov_b32_e32 v15, v6
.LBB14_25:                              ;   in Loop: Header=BB14_21 Depth=2
	s_or_b64 exec, exec, s[4:5]
	v_mad_u64_u32 v[16:17], s[4:5], v14, s34, 0
	s_load_dwordx2 s[4:5], s[30:31], 0xc8
	v_mul_lo_u32 v7, v15, s34
	v_mul_lo_u32 v9, v14, s35
	v_add3_u32 v7, v17, v9, v7
	v_sub_co_u32_e32 v9, vcc, v12, v16
	s_add_i32 s44, s44, -1
	v_subb_co_u32_e32 v7, vcc, v13, v7, vcc
	s_add_u32 s30, s30, -8
	s_waitcnt lgkmcnt(0)
	v_mul_lo_u32 v7, s4, v7
	v_mul_lo_u32 v12, s5, v9
	v_mad_u64_u32 v[10:11], s[4:5], s4, v9, v[10:11]
	s_addc_u32 s31, s31, -1
	s_cmp_gt_u32 s44, 2
	v_add3_u32 v11, v12, v11, v7
	s_cbranch_scc0 .LBB14_27
; %bb.26:                               ;   in Loop: Header=BB14_21 Depth=2
	v_pk_mov_b32 v[12:13], v[14:15], v[14:15] op_sel:[0,1]
	s_branch .LBB14_21
.LBB14_27:                              ;   in Loop: Header=BB14_20 Depth=1
	v_pk_mov_b32 v[12:13], s[24:25], s[24:25] op_sel:[0,1]
	s_waitcnt lgkmcnt(0)
	v_mad_u64_u32 v[12:13], s[4:5], s22, v14, v[12:13]
	v_mul_lo_u32 v7, s22, v15
	v_mul_lo_u32 v9, s23, v14
	v_add3_u32 v7, v9, v13, v7
	v_add_co_u32_e32 v10, vcc, v12, v10
	v_addc_co_u32_e32 v11, vcc, v7, v11, vcc
	global_load_sbyte v7, v[10:11], off
	s_waitcnt vmcnt(0)
	v_bfe_i32 v10, v7, 0, 16
	v_ashrrev_i32_e32 v11, 31, v10
	v_cmp_le_i64_e32 vcc, s[10:11], v[10:11]
	v_cmp_ge_i64_e64 s[4:5], s[12:13], v[10:11]
	s_and_b64 s[4:5], vcc, s[4:5]
	s_and_saveexec_b64 s[30:31], s[4:5]
	s_cbranch_execz .LBB14_19
; %bb.28:                               ;   in Loop: Header=BB14_20 Depth=1
	v_mov_b32_e32 v7, s11
	v_subrev_co_u32_e32 v9, vcc, s10, v10
	v_subb_co_u32_e32 v7, vcc, v11, v7, vcc
	v_mul_lo_u32 v7, v7, s8
	v_mul_lo_u32 v12, v9, s9
	v_mad_u64_u32 v[10:11], s[4:5], v9, s8, 0
	v_add3_u32 v11, v11, v12, v7
	v_or_b32_e32 v7, s42, v11
	v_cmp_ne_u64_e32 vcc, 0, v[6:7]
                                        ; implicit-def: $vgpr12_vgpr13
	s_and_saveexec_b64 s[4:5], vcc
	s_xor_b64 s[34:35], exec, s[4:5]
	s_cbranch_execz .LBB14_30
; %bb.29:                               ;   in Loop: Header=BB14_20 Depth=1
	s_ashr_i32 s36, s42, 31
	s_add_u32 s4, s33, s36
	s_mov_b32 s37, s36
	s_addc_u32 s5, s42, s36
	s_xor_b64 s[38:39], s[4:5], s[36:37]
	v_cvt_f32_u32_e32 v7, s38
	v_cvt_f32_u32_e32 v9, s39
	s_sub_u32 s4, 0, s38
	s_subb_u32 s5, 0, s39
	v_mac_f32_e32 v7, 0x4f800000, v9
	v_rcp_f32_e32 v7, v7
	v_mul_f32_e32 v7, 0x5f7ffffc, v7
	v_mul_f32_e32 v9, 0x2f800000, v7
	v_trunc_f32_e32 v9, v9
	v_mac_f32_e32 v7, 0xcf800000, v9
	v_cvt_u32_f32_e32 v9, v9
	v_cvt_u32_f32_e32 v7, v7
	v_mul_lo_u32 v12, s4, v9
	v_mul_hi_u32 v14, s4, v7
	v_mul_lo_u32 v13, s5, v7
	v_add_u32_e32 v12, v14, v12
	v_mul_lo_u32 v15, s4, v7
	v_add_u32_e32 v12, v12, v13
	v_mul_lo_u32 v14, v7, v12
	v_mul_hi_u32 v16, v7, v15
	v_mul_hi_u32 v13, v7, v12
	v_add_co_u32_e32 v14, vcc, v16, v14
	v_addc_co_u32_e32 v13, vcc, 0, v13, vcc
	v_mul_hi_u32 v17, v9, v15
	v_mul_lo_u32 v15, v9, v15
	v_add_co_u32_e32 v14, vcc, v14, v15
	v_mul_hi_u32 v16, v9, v12
	v_addc_co_u32_e32 v13, vcc, v13, v17, vcc
	v_addc_co_u32_e32 v14, vcc, 0, v16, vcc
	v_mul_lo_u32 v12, v9, v12
	v_add_co_u32_e32 v12, vcc, v13, v12
	v_addc_co_u32_e32 v13, vcc, 0, v14, vcc
	v_add_co_u32_e32 v7, vcc, v7, v12
	v_addc_co_u32_e32 v9, vcc, v9, v13, vcc
	v_mul_lo_u32 v12, s4, v9
	v_mul_hi_u32 v13, s4, v7
	v_add_u32_e32 v12, v13, v12
	v_mul_lo_u32 v13, s5, v7
	v_add_u32_e32 v12, v12, v13
	v_mul_lo_u32 v14, s4, v7
	v_mul_hi_u32 v15, v9, v14
	v_mul_lo_u32 v16, v9, v14
	v_mul_lo_u32 v18, v7, v12
	v_mul_hi_u32 v14, v7, v14
	v_mul_hi_u32 v17, v7, v12
	v_add_co_u32_e32 v14, vcc, v14, v18
	v_addc_co_u32_e32 v17, vcc, 0, v17, vcc
	v_add_co_u32_e32 v14, vcc, v14, v16
	v_mul_hi_u32 v13, v9, v12
	v_addc_co_u32_e32 v14, vcc, v17, v15, vcc
	v_addc_co_u32_e32 v13, vcc, 0, v13, vcc
	v_mul_lo_u32 v12, v9, v12
	v_add_co_u32_e32 v12, vcc, v14, v12
	v_addc_co_u32_e32 v13, vcc, 0, v13, vcc
	v_add_co_u32_e32 v7, vcc, v7, v12
	v_addc_co_u32_e32 v9, vcc, v9, v13, vcc
	v_ashrrev_i32_e32 v14, 31, v11
	v_add_co_u32_e32 v10, vcc, v10, v14
	v_addc_co_u32_e32 v11, vcc, v11, v14, vcc
	v_xor_b32_e32 v16, v10, v14
	v_xor_b32_e32 v15, v11, v14
	v_mad_u64_u32 v[10:11], s[4:5], v16, v9, 0
	v_mul_hi_u32 v12, v16, v7
	v_add_co_u32_e32 v17, vcc, v12, v10
	v_addc_co_u32_e32 v18, vcc, 0, v11, vcc
	v_mad_u64_u32 v[12:13], s[4:5], v15, v7, 0
	v_add_co_u32_e32 v7, vcc, v17, v12
	v_mad_u64_u32 v[10:11], s[4:5], v15, v9, 0
	v_addc_co_u32_e32 v7, vcc, v18, v13, vcc
	v_addc_co_u32_e32 v9, vcc, 0, v11, vcc
	v_add_co_u32_e32 v7, vcc, v7, v10
	v_addc_co_u32_e32 v9, vcc, 0, v9, vcc
	v_mul_lo_u32 v12, s39, v7
	v_mul_lo_u32 v9, s38, v9
	v_mad_u64_u32 v[10:11], s[4:5], s38, v7, 0
	v_add3_u32 v9, v11, v9, v12
	v_sub_u32_e32 v11, v15, v9
	v_mov_b32_e32 v12, s39
	v_sub_co_u32_e32 v10, vcc, v16, v10
	v_subb_co_u32_e64 v11, s[4:5], v11, v12, vcc
	v_subrev_co_u32_e64 v12, s[4:5], s38, v10
	v_subbrev_co_u32_e64 v11, s[4:5], 0, v11, s[4:5]
	v_cmp_le_u32_e64 s[4:5], s39, v11
	v_subb_co_u32_e32 v9, vcc, v15, v9, vcc
	v_cndmask_b32_e64 v13, 0, -1, s[4:5]
	v_cmp_le_u32_e64 s[4:5], s38, v12
	v_cmp_le_u32_e32 vcc, s39, v9
	v_cndmask_b32_e64 v12, 0, -1, s[4:5]
	v_cmp_eq_u32_e64 s[4:5], s39, v11
	v_cndmask_b32_e64 v15, 0, -1, vcc
	v_cmp_le_u32_e32 vcc, s38, v10
	v_cndmask_b32_e64 v11, v13, v12, s[4:5]
	v_cndmask_b32_e64 v10, 0, -1, vcc
	v_cmp_eq_u32_e32 vcc, s39, v9
	v_add_co_u32_e64 v12, s[4:5], 2, v7
	v_add_co_u32_e64 v13, s[4:5], 1, v7
	v_cndmask_b32_e32 v9, v15, v10, vcc
	v_cmp_ne_u32_e32 vcc, 0, v11
	v_cndmask_b32_e32 v10, v13, v12, vcc
	v_cmp_ne_u32_e32 vcc, 0, v9
	v_cndmask_b32_e32 v7, v7, v10, vcc
	v_xor_b32_e32 v9, s36, v14
	v_xor_b32_e32 v7, v7, v9
	v_sub_co_u32_e32 v12, vcc, v7, v9
                                        ; implicit-def: $vgpr10_vgpr11
.LBB14_30:                              ;   in Loop: Header=BB14_20 Depth=1
	s_andn2_saveexec_b64 s[4:5], s[34:35]
	s_cbranch_execz .LBB14_18
; %bb.31:                               ;   in Loop: Header=BB14_20 Depth=1
	v_cvt_f32_u32_e32 v7, s33
	s_sub_i32 s34, 0, s33
	v_rcp_iflag_f32_e32 v7, v7
	v_mul_f32_e32 v7, 0x4f7ffffe, v7
	v_cvt_u32_f32_e32 v7, v7
	v_mul_lo_u32 v9, s34, v7
	v_mul_hi_u32 v9, v7, v9
	v_add_u32_e32 v7, v7, v9
	v_mul_hi_u32 v7, v10, v7
	v_mul_lo_u32 v9, v7, s33
	v_sub_u32_e32 v9, v10, v9
	v_add_u32_e32 v11, 1, v7
	v_subrev_u32_e32 v10, s33, v9
	v_cmp_le_u32_e32 vcc, s33, v9
	v_cndmask_b32_e32 v9, v9, v10, vcc
	v_cndmask_b32_e32 v7, v7, v11, vcc
	v_add_u32_e32 v10, 1, v7
	v_cmp_le_u32_e32 vcc, s33, v9
	v_cndmask_b32_e32 v12, v7, v10, vcc
	s_branch .LBB14_18
.LBB14_32:
	s_or_b64 exec, exec, s[6:7]
; %bb.33:
	s_barrier
	s_and_saveexec_b64 s[2:3], s[0:1]
	s_cbranch_execz .LBB14_36
; %bb.34:
	v_mad_u64_u32 v[4:5], s[0:1], s20, v0, 0
	v_mov_b32_e32 v6, v5
	v_mad_u64_u32 v[6:7], s[0:1], s21, v0, v[6:7]
	v_mov_b32_e32 v5, v6
	;; [unrolled: 2-line block ×3, first 2 shown]
	v_lshlrev_b64 v[4:5], 2, v[4:5]
	v_mad_u64_u32 v[8:9], s[0:1], s21, v2, v[8:9]
	v_mov_b32_e32 v3, s17
	v_add_co_u32_e32 v4, vcc, s16, v4
	v_mov_b32_e32 v7, v8
	v_addc_co_u32_e32 v5, vcc, v3, v5, vcc
	v_lshlrev_b64 v[6:7], 2, v[6:7]
	v_lshl_add_u32 v3, v0, 2, 0
	v_lshlrev_b32_e32 v8, 2, v2
	s_mov_b64 s[0:1], 0
.LBB14_35:                              ; =>This Inner Loop Header: Depth=1
	ds_read_b32 v9, v3
	v_add_co_u32_e32 v0, vcc, v0, v2
	v_addc_co_u32_e32 v1, vcc, 0, v1, vcc
	s_waitcnt lgkmcnt(0)
	global_atomic_add_f32 v[4:5], v9, off
	v_cmp_le_i64_e32 vcc, s[18:19], v[0:1]
	s_or_b64 s[0:1], vcc, s[0:1]
	v_add_co_u32_e32 v4, vcc, v4, v6
	v_add_u32_e32 v3, v3, v8
	v_addc_co_u32_e32 v5, vcc, v5, v7, vcc
	s_andn2_b64 exec, exec, s[0:1]
	s_cbranch_execnz .LBB14_35
.LBB14_36:
	s_endpgm
	.section	.rodata,"a",@progbits
	.p2align	6, 0x0
	.amdhsa_kernel _ZN2at4cuda17kernelHistogram1DIfalLi1ELi2ELin1ELNS0_23CUDAHistogramMemoryTypeE0EZNS0_21CUDA_tensor_histogramIfaLb1EEEbNS_6TensorES4_S4_lNS_14AccumulateTypeIT0_Lb1EE4typeES8_NS0_13TensorArgTypeES9_S9_EUllE0_EEvNS0_6detail10TensorInfoIT_T1_EESF_NSC_IKS6_SE_EElS8_S8_SE_T6_
		.amdhsa_group_segment_fixed_size 0
		.amdhsa_private_segment_fixed_size 0
		.amdhsa_kernarg_size 1544
		.amdhsa_user_sgpr_count 6
		.amdhsa_user_sgpr_private_segment_buffer 1
		.amdhsa_user_sgpr_dispatch_ptr 0
		.amdhsa_user_sgpr_queue_ptr 0
		.amdhsa_user_sgpr_kernarg_segment_ptr 1
		.amdhsa_user_sgpr_dispatch_id 0
		.amdhsa_user_sgpr_flat_scratch_init 0
		.amdhsa_user_sgpr_kernarg_preload_length 0
		.amdhsa_user_sgpr_kernarg_preload_offset 0
		.amdhsa_user_sgpr_private_segment_size 0
		.amdhsa_uses_dynamic_stack 0
		.amdhsa_system_sgpr_private_segment_wavefront_offset 0
		.amdhsa_system_sgpr_workgroup_id_x 1
		.amdhsa_system_sgpr_workgroup_id_y 0
		.amdhsa_system_sgpr_workgroup_id_z 0
		.amdhsa_system_sgpr_workgroup_info 0
		.amdhsa_system_vgpr_workitem_id 0
		.amdhsa_next_free_vgpr 23
		.amdhsa_next_free_sgpr 45
		.amdhsa_accum_offset 24
		.amdhsa_reserve_vcc 1
		.amdhsa_reserve_flat_scratch 0
		.amdhsa_float_round_mode_32 0
		.amdhsa_float_round_mode_16_64 0
		.amdhsa_float_denorm_mode_32 3
		.amdhsa_float_denorm_mode_16_64 3
		.amdhsa_dx10_clamp 1
		.amdhsa_ieee_mode 1
		.amdhsa_fp16_overflow 0
		.amdhsa_tg_split 0
		.amdhsa_exception_fp_ieee_invalid_op 0
		.amdhsa_exception_fp_denorm_src 0
		.amdhsa_exception_fp_ieee_div_zero 0
		.amdhsa_exception_fp_ieee_overflow 0
		.amdhsa_exception_fp_ieee_underflow 0
		.amdhsa_exception_fp_ieee_inexact 0
		.amdhsa_exception_int_div_zero 0
	.end_amdhsa_kernel
	.section	.text._ZN2at4cuda17kernelHistogram1DIfalLi1ELi2ELin1ELNS0_23CUDAHistogramMemoryTypeE0EZNS0_21CUDA_tensor_histogramIfaLb1EEEbNS_6TensorES4_S4_lNS_14AccumulateTypeIT0_Lb1EE4typeES8_NS0_13TensorArgTypeES9_S9_EUllE0_EEvNS0_6detail10TensorInfoIT_T1_EESF_NSC_IKS6_SE_EElS8_S8_SE_T6_,"axG",@progbits,_ZN2at4cuda17kernelHistogram1DIfalLi1ELi2ELin1ELNS0_23CUDAHistogramMemoryTypeE0EZNS0_21CUDA_tensor_histogramIfaLb1EEEbNS_6TensorES4_S4_lNS_14AccumulateTypeIT0_Lb1EE4typeES8_NS0_13TensorArgTypeES9_S9_EUllE0_EEvNS0_6detail10TensorInfoIT_T1_EESF_NSC_IKS6_SE_EElS8_S8_SE_T6_,comdat
.Lfunc_end14:
	.size	_ZN2at4cuda17kernelHistogram1DIfalLi1ELi2ELin1ELNS0_23CUDAHistogramMemoryTypeE0EZNS0_21CUDA_tensor_histogramIfaLb1EEEbNS_6TensorES4_S4_lNS_14AccumulateTypeIT0_Lb1EE4typeES8_NS0_13TensorArgTypeES9_S9_EUllE0_EEvNS0_6detail10TensorInfoIT_T1_EESF_NSC_IKS6_SE_EElS8_S8_SE_T6_, .Lfunc_end14-_ZN2at4cuda17kernelHistogram1DIfalLi1ELi2ELin1ELNS0_23CUDAHistogramMemoryTypeE0EZNS0_21CUDA_tensor_histogramIfaLb1EEEbNS_6TensorES4_S4_lNS_14AccumulateTypeIT0_Lb1EE4typeES8_NS0_13TensorArgTypeES9_S9_EUllE0_EEvNS0_6detail10TensorInfoIT_T1_EESF_NSC_IKS6_SE_EElS8_S8_SE_T6_
                                        ; -- End function
	.section	.AMDGPU.csdata,"",@progbits
; Kernel info:
; codeLenInByte = 3368
; NumSgprs: 49
; NumVgprs: 23
; NumAgprs: 0
; TotalNumVgprs: 23
; ScratchSize: 0
; MemoryBound: 0
; FloatMode: 240
; IeeeMode: 1
; LDSByteSize: 0 bytes/workgroup (compile time only)
; SGPRBlocks: 6
; VGPRBlocks: 2
; NumSGPRsForWavesPerEU: 49
; NumVGPRsForWavesPerEU: 23
; AccumOffset: 24
; Occupancy: 8
; WaveLimiterHint : 1
; COMPUTE_PGM_RSRC2:SCRATCH_EN: 0
; COMPUTE_PGM_RSRC2:USER_SGPR: 6
; COMPUTE_PGM_RSRC2:TRAP_HANDLER: 0
; COMPUTE_PGM_RSRC2:TGID_X_EN: 1
; COMPUTE_PGM_RSRC2:TGID_Y_EN: 0
; COMPUTE_PGM_RSRC2:TGID_Z_EN: 0
; COMPUTE_PGM_RSRC2:TIDIG_COMP_CNT: 0
; COMPUTE_PGM_RSRC3_GFX90A:ACCUM_OFFSET: 5
; COMPUTE_PGM_RSRC3_GFX90A:TG_SPLIT: 0
	.section	.text._ZN2at4cuda17kernelHistogram1DIfalLi1ELi2ELin1ELNS0_23CUDAHistogramMemoryTypeE1EZNS0_21CUDA_tensor_histogramIfaLb1EEEbNS_6TensorES4_S4_lNS_14AccumulateTypeIT0_Lb1EE4typeES8_NS0_13TensorArgTypeES9_S9_EUllE0_EEvNS0_6detail10TensorInfoIT_T1_EESF_NSC_IKS6_SE_EElS8_S8_SE_T6_,"axG",@progbits,_ZN2at4cuda17kernelHistogram1DIfalLi1ELi2ELin1ELNS0_23CUDAHistogramMemoryTypeE1EZNS0_21CUDA_tensor_histogramIfaLb1EEEbNS_6TensorES4_S4_lNS_14AccumulateTypeIT0_Lb1EE4typeES8_NS0_13TensorArgTypeES9_S9_EUllE0_EEvNS0_6detail10TensorInfoIT_T1_EESF_NSC_IKS6_SE_EElS8_S8_SE_T6_,comdat
	.protected	_ZN2at4cuda17kernelHistogram1DIfalLi1ELi2ELin1ELNS0_23CUDAHistogramMemoryTypeE1EZNS0_21CUDA_tensor_histogramIfaLb1EEEbNS_6TensorES4_S4_lNS_14AccumulateTypeIT0_Lb1EE4typeES8_NS0_13TensorArgTypeES9_S9_EUllE0_EEvNS0_6detail10TensorInfoIT_T1_EESF_NSC_IKS6_SE_EElS8_S8_SE_T6_ ; -- Begin function _ZN2at4cuda17kernelHistogram1DIfalLi1ELi2ELin1ELNS0_23CUDAHistogramMemoryTypeE1EZNS0_21CUDA_tensor_histogramIfaLb1EEEbNS_6TensorES4_S4_lNS_14AccumulateTypeIT0_Lb1EE4typeES8_NS0_13TensorArgTypeES9_S9_EUllE0_EEvNS0_6detail10TensorInfoIT_T1_EESF_NSC_IKS6_SE_EElS8_S8_SE_T6_
	.globl	_ZN2at4cuda17kernelHistogram1DIfalLi1ELi2ELin1ELNS0_23CUDAHistogramMemoryTypeE1EZNS0_21CUDA_tensor_histogramIfaLb1EEEbNS_6TensorES4_S4_lNS_14AccumulateTypeIT0_Lb1EE4typeES8_NS0_13TensorArgTypeES9_S9_EUllE0_EEvNS0_6detail10TensorInfoIT_T1_EESF_NSC_IKS6_SE_EElS8_S8_SE_T6_
	.p2align	8
	.type	_ZN2at4cuda17kernelHistogram1DIfalLi1ELi2ELin1ELNS0_23CUDAHistogramMemoryTypeE1EZNS0_21CUDA_tensor_histogramIfaLb1EEEbNS_6TensorES4_S4_lNS_14AccumulateTypeIT0_Lb1EE4typeES8_NS0_13TensorArgTypeES9_S9_EUllE0_EEvNS0_6detail10TensorInfoIT_T1_EESF_NSC_IKS6_SE_EElS8_S8_SE_T6_,@function
_ZN2at4cuda17kernelHistogram1DIfalLi1ELi2ELin1ELNS0_23CUDAHistogramMemoryTypeE1EZNS0_21CUDA_tensor_histogramIfaLb1EEEbNS_6TensorES4_S4_lNS_14AccumulateTypeIT0_Lb1EE4typeES8_NS0_13TensorArgTypeES9_S9_EUllE0_EEvNS0_6detail10TensorInfoIT_T1_EESF_NSC_IKS6_SE_EElS8_S8_SE_T6_: ; @_ZN2at4cuda17kernelHistogram1DIfalLi1ELi2ELin1ELNS0_23CUDAHistogramMemoryTypeE1EZNS0_21CUDA_tensor_histogramIfaLb1EEEbNS_6TensorES4_S4_lNS_14AccumulateTypeIT0_Lb1EE4typeES8_NS0_13TensorArgTypeES9_S9_EUllE0_EEvNS0_6detail10TensorInfoIT_T1_EESF_NSC_IKS6_SE_EElS8_S8_SE_T6_
; %bb.0:
	s_load_dword s2, s[4:5], 0x514
	s_load_dwordx8 s[8:15], s[4:5], 0x4e0
	s_add_u32 s0, s4, 0x508
	s_addc_u32 s1, s5, 0
	v_mov_b32_e32 v2, 0
	s_waitcnt lgkmcnt(0)
	s_and_b32 s2, s2, 0xffff
	s_mul_i32 s6, s6, s2
	v_add_u32_e32 v0, s6, v0
	v_mov_b32_e32 v1, v2
	v_cmp_gt_i64_e32 vcc, s[14:15], v[0:1]
	s_and_saveexec_b64 s[6:7], vcc
	s_cbranch_execz .LBB15_16
; %bb.1:
	s_load_dword s3, s[4:5], 0x4d8
	s_load_dwordx2 s[6:7], s[4:5], 0x0
	s_load_dwordx2 s[16:17], s[4:5], 0xd0
	s_load_dword s24, s[0:1], 0x0
	s_add_u32 s22, s4, 0x340
	s_addc_u32 s23, s5, 0
	s_mov_b32 s38, 0
	s_waitcnt lgkmcnt(0)
	s_cmp_gt_i32 s3, 1
	s_cselect_b64 s[0:1], -1, 0
	s_sub_u32 s33, s12, s10
	s_subb_u32 s36, s13, s11
	s_mul_i32 s37, s24, s2
	s_add_i32 s39, s3, 1
	s_add_i32 s2, s3, -1
	s_mov_b32 s3, s38
	s_load_dwordx2 s[18:19], s[4:5], 0x410
	s_load_dwordx2 s[20:21], s[4:5], 0x340
	s_lshl_b64 s[2:3], s[2:3], 3
	s_add_u32 s2, s2, s22
	s_addc_u32 s3, s3, s23
	s_add_u32 s4, s2, 8
	v_cndmask_b32_e64 v3, 0, 1, s[0:1]
	s_addc_u32 s5, s3, 0
	s_mov_b64 s[22:23], 0
	v_cmp_ne_u32_e64 s[0:1], 1, v3
	v_mov_b32_e32 v10, 1.0
	s_branch .LBB15_4
.LBB15_2:                               ;   in Loop: Header=BB15_4 Depth=1
	s_or_b64 exec, exec, s[2:3]
	v_ashrrev_i32_e32 v7, 31, v6
	v_cmp_eq_u64_e32 vcc, s[8:9], v[6:7]
	v_cndmask_b32_e64 v3, 0, 1, vcc
	v_sub_co_u32_e32 v3, vcc, v6, v3
	v_subbrev_co_u32_e32 v4, vcc, 0, v7, vcc
	v_mul_lo_u32 v6, v4, s16
	v_mul_lo_u32 v7, v3, s17
	v_mad_u64_u32 v[4:5], s[2:3], v3, s16, 0
	v_add3_u32 v5, v5, v7, v6
	v_lshlrev_b64 v[4:5], 2, v[4:5]
	v_mov_b32_e32 v3, s7
	v_add_co_u32_e32 v4, vcc, s6, v4
	v_addc_co_u32_e32 v5, vcc, v3, v5, vcc
	global_atomic_add_f32 v[4:5], v10, off
.LBB15_3:                               ;   in Loop: Header=BB15_4 Depth=1
	s_or_b64 exec, exec, s[24:25]
	v_mov_b32_e32 v3, s38
	v_add_co_u32_e32 v0, vcc, s37, v0
	v_addc_co_u32_e32 v1, vcc, v1, v3, vcc
	v_cmp_le_i64_e32 vcc, s[14:15], v[0:1]
	s_or_b64 s[22:23], vcc, s[22:23]
	s_andn2_b64 exec, exec, s[22:23]
	s_cbranch_execz .LBB15_16
.LBB15_4:                               ; =>This Loop Header: Depth=1
                                        ;     Child Loop BB15_5 Depth 2
	s_and_b64 vcc, exec, s[0:1]
	v_pk_mov_b32 v[4:5], 0, 0
	s_mov_b64 s[24:25], s[4:5]
	s_mov_b32 s40, s39
	v_pk_mov_b32 v[6:7], v[0:1], v[0:1] op_sel:[0,1]
	v_pk_mov_b32 v[8:9], v[0:1], v[0:1] op_sel:[0,1]
	s_cbranch_vccnz .LBB15_11
.LBB15_5:                               ;   Parent Loop BB15_4 Depth=1
                                        ; =>  This Inner Loop Header: Depth=2
	s_load_dwordx2 s[26:27], s[24:25], 0x0
                                        ; implicit-def: $vgpr8_vgpr9
	s_waitcnt lgkmcnt(0)
	v_or_b32_e32 v3, s27, v7
	v_cmp_ne_u64_e32 vcc, 0, v[2:3]
	s_and_saveexec_b64 s[2:3], vcc
	s_xor_b64 s[28:29], exec, s[2:3]
	s_cbranch_execz .LBB15_7
; %bb.6:                                ;   in Loop: Header=BB15_5 Depth=2
	s_ashr_i32 s30, s27, 31
	s_add_u32 s2, s26, s30
	s_mov_b32 s31, s30
	s_addc_u32 s3, s27, s30
	s_xor_b64 s[34:35], s[2:3], s[30:31]
	v_cvt_f32_u32_e32 v3, s34
	v_cvt_f32_u32_e32 v8, s35
	s_sub_u32 s2, 0, s34
	s_subb_u32 s3, 0, s35
	v_mac_f32_e32 v3, 0x4f800000, v8
	v_rcp_f32_e32 v3, v3
	v_mul_f32_e32 v3, 0x5f7ffffc, v3
	v_mul_f32_e32 v8, 0x2f800000, v3
	v_trunc_f32_e32 v8, v8
	v_mac_f32_e32 v3, 0xcf800000, v8
	v_cvt_u32_f32_e32 v8, v8
	v_cvt_u32_f32_e32 v3, v3
	v_mul_lo_u32 v9, s2, v8
	v_mul_hi_u32 v12, s2, v3
	v_mul_lo_u32 v11, s3, v3
	v_add_u32_e32 v9, v12, v9
	v_mul_lo_u32 v13, s2, v3
	v_add_u32_e32 v9, v9, v11
	v_mul_lo_u32 v12, v3, v9
	v_mul_hi_u32 v14, v3, v13
	v_mul_hi_u32 v11, v3, v9
	v_add_co_u32_e32 v12, vcc, v14, v12
	v_addc_co_u32_e32 v11, vcc, 0, v11, vcc
	v_mul_hi_u32 v15, v8, v13
	v_mul_lo_u32 v13, v8, v13
	v_add_co_u32_e32 v12, vcc, v12, v13
	v_mul_hi_u32 v14, v8, v9
	v_addc_co_u32_e32 v11, vcc, v11, v15, vcc
	v_addc_co_u32_e32 v12, vcc, 0, v14, vcc
	v_mul_lo_u32 v9, v8, v9
	v_add_co_u32_e32 v9, vcc, v11, v9
	v_addc_co_u32_e32 v11, vcc, 0, v12, vcc
	v_add_co_u32_e32 v3, vcc, v3, v9
	v_addc_co_u32_e32 v8, vcc, v8, v11, vcc
	v_mul_lo_u32 v9, s2, v8
	v_mul_hi_u32 v11, s2, v3
	v_add_u32_e32 v9, v11, v9
	v_mul_lo_u32 v11, s3, v3
	v_add_u32_e32 v9, v9, v11
	v_mul_lo_u32 v12, s2, v3
	v_mul_hi_u32 v13, v8, v12
	v_mul_lo_u32 v14, v8, v12
	v_mul_lo_u32 v16, v3, v9
	v_mul_hi_u32 v12, v3, v12
	v_mul_hi_u32 v15, v3, v9
	v_add_co_u32_e32 v12, vcc, v12, v16
	v_addc_co_u32_e32 v15, vcc, 0, v15, vcc
	v_add_co_u32_e32 v12, vcc, v12, v14
	v_mul_hi_u32 v11, v8, v9
	v_addc_co_u32_e32 v12, vcc, v15, v13, vcc
	v_addc_co_u32_e32 v11, vcc, 0, v11, vcc
	v_mul_lo_u32 v9, v8, v9
	v_add_co_u32_e32 v9, vcc, v12, v9
	v_addc_co_u32_e32 v11, vcc, 0, v11, vcc
	v_add_co_u32_e32 v3, vcc, v3, v9
	v_addc_co_u32_e32 v11, vcc, v8, v11, vcc
	v_ashrrev_i32_e32 v14, 31, v7
	v_add_co_u32_e32 v8, vcc, v6, v14
	v_addc_co_u32_e32 v9, vcc, v7, v14, vcc
	v_xor_b32_e32 v16, v8, v14
	v_xor_b32_e32 v15, v9, v14
	v_mad_u64_u32 v[8:9], s[2:3], v16, v11, 0
	v_mul_hi_u32 v12, v16, v3
	v_add_co_u32_e32 v17, vcc, v12, v8
	v_addc_co_u32_e32 v18, vcc, 0, v9, vcc
	v_mad_u64_u32 v[12:13], s[2:3], v15, v3, 0
	v_add_co_u32_e32 v3, vcc, v17, v12
	v_mad_u64_u32 v[8:9], s[2:3], v15, v11, 0
	v_addc_co_u32_e32 v3, vcc, v18, v13, vcc
	v_addc_co_u32_e32 v9, vcc, 0, v9, vcc
	v_add_co_u32_e32 v3, vcc, v3, v8
	v_addc_co_u32_e32 v11, vcc, 0, v9, vcc
	v_mul_lo_u32 v12, s35, v3
	v_mul_lo_u32 v13, s34, v11
	v_mad_u64_u32 v[8:9], s[2:3], s34, v3, 0
	v_add3_u32 v9, v9, v13, v12
	v_sub_u32_e32 v12, v15, v9
	v_mov_b32_e32 v13, s35
	v_sub_co_u32_e32 v8, vcc, v16, v8
	v_subb_co_u32_e64 v12, s[2:3], v12, v13, vcc
	v_subrev_co_u32_e64 v13, s[2:3], s34, v8
	v_subbrev_co_u32_e64 v12, s[2:3], 0, v12, s[2:3]
	v_cmp_le_u32_e64 s[2:3], s35, v12
	v_cndmask_b32_e64 v16, 0, -1, s[2:3]
	v_cmp_le_u32_e64 s[2:3], s34, v13
	v_cndmask_b32_e64 v13, 0, -1, s[2:3]
	v_cmp_eq_u32_e64 s[2:3], s35, v12
	v_cndmask_b32_e64 v12, v16, v13, s[2:3]
	v_add_co_u32_e64 v13, s[2:3], 2, v3
	v_subb_co_u32_e32 v9, vcc, v15, v9, vcc
	v_addc_co_u32_e64 v16, s[2:3], 0, v11, s[2:3]
	v_cmp_le_u32_e32 vcc, s35, v9
	v_add_co_u32_e64 v17, s[2:3], 1, v3
	v_cndmask_b32_e64 v15, 0, -1, vcc
	v_cmp_le_u32_e32 vcc, s34, v8
	v_addc_co_u32_e64 v18, s[2:3], 0, v11, s[2:3]
	v_cndmask_b32_e64 v8, 0, -1, vcc
	v_cmp_eq_u32_e32 vcc, s35, v9
	v_cmp_ne_u32_e64 s[2:3], 0, v12
	v_cndmask_b32_e32 v8, v15, v8, vcc
	v_cmp_ne_u32_e32 vcc, 0, v8
	v_cndmask_b32_e64 v9, v17, v13, s[2:3]
	v_cndmask_b32_e64 v12, v18, v16, s[2:3]
	v_cndmask_b32_e32 v3, v3, v9, vcc
	v_xor_b32_e32 v9, s30, v14
	v_cndmask_b32_e32 v8, v11, v12, vcc
	v_xor_b32_e32 v3, v3, v9
	v_xor_b32_e32 v11, v8, v9
	v_sub_co_u32_e32 v8, vcc, v3, v9
	v_subb_co_u32_e32 v9, vcc, v11, v9, vcc
.LBB15_7:                               ;   in Loop: Header=BB15_5 Depth=2
	s_andn2_saveexec_b64 s[2:3], s[28:29]
	s_cbranch_execz .LBB15_9
; %bb.8:                                ;   in Loop: Header=BB15_5 Depth=2
	v_cvt_f32_u32_e32 v3, s26
	s_sub_i32 s28, 0, s26
	v_rcp_iflag_f32_e32 v3, v3
	v_mul_f32_e32 v3, 0x4f7ffffe, v3
	v_cvt_u32_f32_e32 v3, v3
	v_mul_lo_u32 v8, s28, v3
	v_mul_hi_u32 v8, v3, v8
	v_add_u32_e32 v3, v3, v8
	v_mul_hi_u32 v3, v6, v3
	v_mul_lo_u32 v8, v3, s26
	v_sub_u32_e32 v8, v6, v8
	v_add_u32_e32 v9, 1, v3
	v_subrev_u32_e32 v11, s26, v8
	v_cmp_le_u32_e32 vcc, s26, v8
	v_cndmask_b32_e32 v8, v8, v11, vcc
	v_cndmask_b32_e32 v3, v3, v9, vcc
	v_add_u32_e32 v9, 1, v3
	v_cmp_le_u32_e32 vcc, s26, v8
	v_cndmask_b32_e32 v8, v3, v9, vcc
	v_mov_b32_e32 v9, v2
.LBB15_9:                               ;   in Loop: Header=BB15_5 Depth=2
	s_or_b64 exec, exec, s[2:3]
	v_mad_u64_u32 v[12:13], s[2:3], v8, s26, 0
	s_load_dwordx2 s[2:3], s[24:25], 0xc8
	v_mul_lo_u32 v3, v9, s26
	v_mul_lo_u32 v11, v8, s27
	v_add3_u32 v3, v13, v11, v3
	v_sub_co_u32_e32 v6, vcc, v6, v12
	s_add_i32 s40, s40, -1
	v_subb_co_u32_e32 v3, vcc, v7, v3, vcc
	s_add_u32 s24, s24, -8
	s_waitcnt lgkmcnt(0)
	v_mul_lo_u32 v3, s2, v3
	v_mul_lo_u32 v7, s3, v6
	v_mad_u64_u32 v[4:5], s[2:3], s2, v6, v[4:5]
	s_addc_u32 s25, s25, -1
	s_cmp_gt_u32 s40, 2
	v_add3_u32 v5, v7, v5, v3
	s_cbranch_scc0 .LBB15_11
; %bb.10:                               ;   in Loop: Header=BB15_5 Depth=2
	v_pk_mov_b32 v[6:7], v[8:9], v[8:9] op_sel:[0,1]
	s_branch .LBB15_5
.LBB15_11:                              ;   in Loop: Header=BB15_4 Depth=1
	s_waitcnt lgkmcnt(0)
	v_pk_mov_b32 v[6:7], s[20:21], s[20:21] op_sel:[0,1]
	v_mad_u64_u32 v[6:7], s[2:3], s18, v8, v[6:7]
	v_mul_lo_u32 v3, s18, v9
	v_mul_lo_u32 v8, s19, v8
	v_add3_u32 v3, v8, v7, v3
	v_add_co_u32_e32 v4, vcc, v6, v4
	v_addc_co_u32_e32 v5, vcc, v3, v5, vcc
	global_load_sbyte v3, v[4:5], off
	s_waitcnt vmcnt(0)
	v_bfe_i32 v4, v3, 0, 16
	v_ashrrev_i32_e32 v5, 31, v4
	v_cmp_le_i64_e32 vcc, s[10:11], v[4:5]
	v_cmp_ge_i64_e64 s[2:3], s[12:13], v[4:5]
	s_and_b64 s[2:3], vcc, s[2:3]
	s_and_saveexec_b64 s[24:25], s[2:3]
	s_cbranch_execz .LBB15_3
; %bb.12:                               ;   in Loop: Header=BB15_4 Depth=1
	v_mov_b32_e32 v3, s11
	v_subrev_co_u32_e32 v4, vcc, s10, v4
	v_subb_co_u32_e32 v3, vcc, v5, v3, vcc
	v_mul_lo_u32 v3, v3, s8
	v_mul_lo_u32 v6, v4, s9
	v_mad_u64_u32 v[4:5], s[2:3], v4, s8, 0
	v_add3_u32 v5, v5, v6, v3
	v_or_b32_e32 v3, s36, v5
	v_cmp_ne_u64_e32 vcc, 0, v[2:3]
                                        ; implicit-def: $vgpr6_vgpr7
	s_and_saveexec_b64 s[2:3], vcc
	s_xor_b64 s[26:27], exec, s[2:3]
	s_cbranch_execz .LBB15_14
; %bb.13:                               ;   in Loop: Header=BB15_4 Depth=1
	s_ashr_i32 s28, s36, 31
	s_add_u32 s2, s33, s28
	s_mov_b32 s29, s28
	s_addc_u32 s3, s36, s28
	s_xor_b64 s[30:31], s[2:3], s[28:29]
	v_cvt_f32_u32_e32 v3, s30
	v_cvt_f32_u32_e32 v6, s31
	s_sub_u32 s2, 0, s30
	s_subb_u32 s3, 0, s31
	v_mac_f32_e32 v3, 0x4f800000, v6
	v_rcp_f32_e32 v3, v3
	v_mul_f32_e32 v3, 0x5f7ffffc, v3
	v_mul_f32_e32 v6, 0x2f800000, v3
	v_trunc_f32_e32 v6, v6
	v_mac_f32_e32 v3, 0xcf800000, v6
	v_cvt_u32_f32_e32 v6, v6
	v_cvt_u32_f32_e32 v3, v3
	v_mul_lo_u32 v7, s2, v6
	v_mul_hi_u32 v9, s2, v3
	v_mul_lo_u32 v8, s3, v3
	v_add_u32_e32 v7, v9, v7
	v_mul_lo_u32 v11, s2, v3
	v_add_u32_e32 v7, v7, v8
	v_mul_lo_u32 v9, v3, v7
	v_mul_hi_u32 v12, v3, v11
	v_mul_hi_u32 v8, v3, v7
	v_add_co_u32_e32 v9, vcc, v12, v9
	v_addc_co_u32_e32 v8, vcc, 0, v8, vcc
	v_mul_hi_u32 v13, v6, v11
	v_mul_lo_u32 v11, v6, v11
	v_add_co_u32_e32 v9, vcc, v9, v11
	v_mul_hi_u32 v12, v6, v7
	v_addc_co_u32_e32 v8, vcc, v8, v13, vcc
	v_addc_co_u32_e32 v9, vcc, 0, v12, vcc
	v_mul_lo_u32 v7, v6, v7
	v_add_co_u32_e32 v7, vcc, v8, v7
	v_addc_co_u32_e32 v8, vcc, 0, v9, vcc
	v_add_co_u32_e32 v3, vcc, v3, v7
	v_addc_co_u32_e32 v6, vcc, v6, v8, vcc
	v_mul_lo_u32 v7, s2, v6
	v_mul_hi_u32 v8, s2, v3
	v_add_u32_e32 v7, v8, v7
	v_mul_lo_u32 v8, s3, v3
	v_add_u32_e32 v7, v7, v8
	v_mul_lo_u32 v9, s2, v3
	v_mul_hi_u32 v11, v6, v9
	v_mul_lo_u32 v12, v6, v9
	v_mul_lo_u32 v14, v3, v7
	v_mul_hi_u32 v9, v3, v9
	v_mul_hi_u32 v13, v3, v7
	v_add_co_u32_e32 v9, vcc, v9, v14
	v_addc_co_u32_e32 v13, vcc, 0, v13, vcc
	v_add_co_u32_e32 v9, vcc, v9, v12
	v_mul_hi_u32 v8, v6, v7
	v_addc_co_u32_e32 v9, vcc, v13, v11, vcc
	v_addc_co_u32_e32 v8, vcc, 0, v8, vcc
	v_mul_lo_u32 v7, v6, v7
	v_add_co_u32_e32 v7, vcc, v9, v7
	v_addc_co_u32_e32 v8, vcc, 0, v8, vcc
	v_add_co_u32_e32 v3, vcc, v3, v7
	v_addc_co_u32_e32 v6, vcc, v6, v8, vcc
	v_ashrrev_i32_e32 v8, 31, v5
	v_add_co_u32_e32 v4, vcc, v4, v8
	v_addc_co_u32_e32 v5, vcc, v5, v8, vcc
	v_xor_b32_e32 v11, v4, v8
	v_xor_b32_e32 v9, v5, v8
	v_mad_u64_u32 v[4:5], s[2:3], v11, v6, 0
	v_mul_hi_u32 v7, v11, v3
	v_add_co_u32_e32 v12, vcc, v7, v4
	v_addc_co_u32_e32 v13, vcc, 0, v5, vcc
	v_mad_u64_u32 v[4:5], s[2:3], v9, v6, 0
	v_mad_u64_u32 v[6:7], s[2:3], v9, v3, 0
	v_add_co_u32_e32 v3, vcc, v12, v6
	v_addc_co_u32_e32 v3, vcc, v13, v7, vcc
	v_addc_co_u32_e32 v5, vcc, 0, v5, vcc
	v_add_co_u32_e32 v3, vcc, v3, v4
	v_addc_co_u32_e32 v4, vcc, 0, v5, vcc
	v_mul_lo_u32 v6, s31, v3
	v_mul_lo_u32 v7, s30, v4
	v_mad_u64_u32 v[4:5], s[2:3], s30, v3, 0
	v_add3_u32 v5, v5, v7, v6
	v_sub_u32_e32 v6, v9, v5
	v_mov_b32_e32 v7, s31
	v_sub_co_u32_e32 v4, vcc, v11, v4
	v_subb_co_u32_e64 v6, s[2:3], v6, v7, vcc
	v_subrev_co_u32_e64 v7, s[2:3], s30, v4
	v_subbrev_co_u32_e64 v6, s[2:3], 0, v6, s[2:3]
	v_cmp_le_u32_e64 s[2:3], s31, v6
	v_subb_co_u32_e32 v5, vcc, v9, v5, vcc
	v_cndmask_b32_e64 v11, 0, -1, s[2:3]
	v_cmp_le_u32_e64 s[2:3], s30, v7
	v_cmp_le_u32_e32 vcc, s31, v5
	v_cndmask_b32_e64 v7, 0, -1, s[2:3]
	v_cmp_eq_u32_e64 s[2:3], s31, v6
	v_cndmask_b32_e64 v9, 0, -1, vcc
	v_cmp_le_u32_e32 vcc, s30, v4
	v_cndmask_b32_e64 v6, v11, v7, s[2:3]
	v_cndmask_b32_e64 v4, 0, -1, vcc
	v_cmp_eq_u32_e32 vcc, s31, v5
	v_add_co_u32_e64 v7, s[2:3], 2, v3
	v_add_co_u32_e64 v11, s[2:3], 1, v3
	v_cndmask_b32_e32 v4, v9, v4, vcc
	v_cmp_ne_u32_e32 vcc, 0, v6
	v_cndmask_b32_e32 v5, v11, v7, vcc
	v_cmp_ne_u32_e32 vcc, 0, v4
	v_cndmask_b32_e32 v3, v3, v5, vcc
	v_xor_b32_e32 v4, s28, v8
	v_xor_b32_e32 v3, v3, v4
	v_sub_co_u32_e32 v6, vcc, v3, v4
                                        ; implicit-def: $vgpr4_vgpr5
.LBB15_14:                              ;   in Loop: Header=BB15_4 Depth=1
	s_andn2_saveexec_b64 s[2:3], s[26:27]
	s_cbranch_execz .LBB15_2
; %bb.15:                               ;   in Loop: Header=BB15_4 Depth=1
	v_cvt_f32_u32_e32 v3, s33
	s_sub_i32 s26, 0, s33
	v_rcp_iflag_f32_e32 v3, v3
	v_mul_f32_e32 v3, 0x4f7ffffe, v3
	v_cvt_u32_f32_e32 v3, v3
	v_mul_lo_u32 v5, s26, v3
	v_mul_hi_u32 v5, v3, v5
	v_add_u32_e32 v3, v3, v5
	v_mul_hi_u32 v3, v4, v3
	v_mul_lo_u32 v5, v3, s33
	v_sub_u32_e32 v4, v4, v5
	v_add_u32_e32 v6, 1, v3
	v_subrev_u32_e32 v5, s33, v4
	v_cmp_le_u32_e32 vcc, s33, v4
	v_cndmask_b32_e32 v4, v4, v5, vcc
	v_cndmask_b32_e32 v3, v3, v6, vcc
	v_add_u32_e32 v5, 1, v3
	v_cmp_le_u32_e32 vcc, s33, v4
	v_cndmask_b32_e32 v6, v3, v5, vcc
	s_branch .LBB15_2
.LBB15_16:
	s_endpgm
	.section	.rodata,"a",@progbits
	.p2align	6, 0x0
	.amdhsa_kernel _ZN2at4cuda17kernelHistogram1DIfalLi1ELi2ELin1ELNS0_23CUDAHistogramMemoryTypeE1EZNS0_21CUDA_tensor_histogramIfaLb1EEEbNS_6TensorES4_S4_lNS_14AccumulateTypeIT0_Lb1EE4typeES8_NS0_13TensorArgTypeES9_S9_EUllE0_EEvNS0_6detail10TensorInfoIT_T1_EESF_NSC_IKS6_SE_EElS8_S8_SE_T6_
		.amdhsa_group_segment_fixed_size 0
		.amdhsa_private_segment_fixed_size 0
		.amdhsa_kernarg_size 1544
		.amdhsa_user_sgpr_count 6
		.amdhsa_user_sgpr_private_segment_buffer 1
		.amdhsa_user_sgpr_dispatch_ptr 0
		.amdhsa_user_sgpr_queue_ptr 0
		.amdhsa_user_sgpr_kernarg_segment_ptr 1
		.amdhsa_user_sgpr_dispatch_id 0
		.amdhsa_user_sgpr_flat_scratch_init 0
		.amdhsa_user_sgpr_kernarg_preload_length 0
		.amdhsa_user_sgpr_kernarg_preload_offset 0
		.amdhsa_user_sgpr_private_segment_size 0
		.amdhsa_uses_dynamic_stack 0
		.amdhsa_system_sgpr_private_segment_wavefront_offset 0
		.amdhsa_system_sgpr_workgroup_id_x 1
		.amdhsa_system_sgpr_workgroup_id_y 0
		.amdhsa_system_sgpr_workgroup_id_z 0
		.amdhsa_system_sgpr_workgroup_info 0
		.amdhsa_system_vgpr_workitem_id 0
		.amdhsa_next_free_vgpr 19
		.amdhsa_next_free_sgpr 41
		.amdhsa_accum_offset 20
		.amdhsa_reserve_vcc 1
		.amdhsa_reserve_flat_scratch 0
		.amdhsa_float_round_mode_32 0
		.amdhsa_float_round_mode_16_64 0
		.amdhsa_float_denorm_mode_32 3
		.amdhsa_float_denorm_mode_16_64 3
		.amdhsa_dx10_clamp 1
		.amdhsa_ieee_mode 1
		.amdhsa_fp16_overflow 0
		.amdhsa_tg_split 0
		.amdhsa_exception_fp_ieee_invalid_op 0
		.amdhsa_exception_fp_denorm_src 0
		.amdhsa_exception_fp_ieee_div_zero 0
		.amdhsa_exception_fp_ieee_overflow 0
		.amdhsa_exception_fp_ieee_underflow 0
		.amdhsa_exception_fp_ieee_inexact 0
		.amdhsa_exception_int_div_zero 0
	.end_amdhsa_kernel
	.section	.text._ZN2at4cuda17kernelHistogram1DIfalLi1ELi2ELin1ELNS0_23CUDAHistogramMemoryTypeE1EZNS0_21CUDA_tensor_histogramIfaLb1EEEbNS_6TensorES4_S4_lNS_14AccumulateTypeIT0_Lb1EE4typeES8_NS0_13TensorArgTypeES9_S9_EUllE0_EEvNS0_6detail10TensorInfoIT_T1_EESF_NSC_IKS6_SE_EElS8_S8_SE_T6_,"axG",@progbits,_ZN2at4cuda17kernelHistogram1DIfalLi1ELi2ELin1ELNS0_23CUDAHistogramMemoryTypeE1EZNS0_21CUDA_tensor_histogramIfaLb1EEEbNS_6TensorES4_S4_lNS_14AccumulateTypeIT0_Lb1EE4typeES8_NS0_13TensorArgTypeES9_S9_EUllE0_EEvNS0_6detail10TensorInfoIT_T1_EESF_NSC_IKS6_SE_EElS8_S8_SE_T6_,comdat
.Lfunc_end15:
	.size	_ZN2at4cuda17kernelHistogram1DIfalLi1ELi2ELin1ELNS0_23CUDAHistogramMemoryTypeE1EZNS0_21CUDA_tensor_histogramIfaLb1EEEbNS_6TensorES4_S4_lNS_14AccumulateTypeIT0_Lb1EE4typeES8_NS0_13TensorArgTypeES9_S9_EUllE0_EEvNS0_6detail10TensorInfoIT_T1_EESF_NSC_IKS6_SE_EElS8_S8_SE_T6_, .Lfunc_end15-_ZN2at4cuda17kernelHistogram1DIfalLi1ELi2ELin1ELNS0_23CUDAHistogramMemoryTypeE1EZNS0_21CUDA_tensor_histogramIfaLb1EEEbNS_6TensorES4_S4_lNS_14AccumulateTypeIT0_Lb1EE4typeES8_NS0_13TensorArgTypeES9_S9_EUllE0_EEvNS0_6detail10TensorInfoIT_T1_EESF_NSC_IKS6_SE_EElS8_S8_SE_T6_
                                        ; -- End function
	.section	.AMDGPU.csdata,"",@progbits
; Kernel info:
; codeLenInByte = 2204
; NumSgprs: 45
; NumVgprs: 19
; NumAgprs: 0
; TotalNumVgprs: 19
; ScratchSize: 0
; MemoryBound: 0
; FloatMode: 240
; IeeeMode: 1
; LDSByteSize: 0 bytes/workgroup (compile time only)
; SGPRBlocks: 5
; VGPRBlocks: 2
; NumSGPRsForWavesPerEU: 45
; NumVGPRsForWavesPerEU: 19
; AccumOffset: 20
; Occupancy: 8
; WaveLimiterHint : 1
; COMPUTE_PGM_RSRC2:SCRATCH_EN: 0
; COMPUTE_PGM_RSRC2:USER_SGPR: 6
; COMPUTE_PGM_RSRC2:TRAP_HANDLER: 0
; COMPUTE_PGM_RSRC2:TGID_X_EN: 1
; COMPUTE_PGM_RSRC2:TGID_Y_EN: 0
; COMPUTE_PGM_RSRC2:TGID_Z_EN: 0
; COMPUTE_PGM_RSRC2:TIDIG_COMP_CNT: 0
; COMPUTE_PGM_RSRC3_GFX90A:ACCUM_OFFSET: 4
; COMPUTE_PGM_RSRC3_GFX90A:TG_SPLIT: 0
	.section	.text._ZN2at4cuda17kernelHistogram1DIlalLi1ELi2ELin1ELNS0_23CUDAHistogramMemoryTypeE0EZNS0_21CUDA_tensor_histogramIlaLb0EEEbNS_6TensorES4_S4_lNS_14AccumulateTypeIT0_Lb1EE4typeES8_NS0_13TensorArgTypeES9_S9_EUllE_EEvNS0_6detail10TensorInfoIT_T1_EESF_NSC_IKS6_SE_EElS8_S8_SE_T6_,"axG",@progbits,_ZN2at4cuda17kernelHistogram1DIlalLi1ELi2ELin1ELNS0_23CUDAHistogramMemoryTypeE0EZNS0_21CUDA_tensor_histogramIlaLb0EEEbNS_6TensorES4_S4_lNS_14AccumulateTypeIT0_Lb1EE4typeES8_NS0_13TensorArgTypeES9_S9_EUllE_EEvNS0_6detail10TensorInfoIT_T1_EESF_NSC_IKS6_SE_EElS8_S8_SE_T6_,comdat
	.protected	_ZN2at4cuda17kernelHistogram1DIlalLi1ELi2ELin1ELNS0_23CUDAHistogramMemoryTypeE0EZNS0_21CUDA_tensor_histogramIlaLb0EEEbNS_6TensorES4_S4_lNS_14AccumulateTypeIT0_Lb1EE4typeES8_NS0_13TensorArgTypeES9_S9_EUllE_EEvNS0_6detail10TensorInfoIT_T1_EESF_NSC_IKS6_SE_EElS8_S8_SE_T6_ ; -- Begin function _ZN2at4cuda17kernelHistogram1DIlalLi1ELi2ELin1ELNS0_23CUDAHistogramMemoryTypeE0EZNS0_21CUDA_tensor_histogramIlaLb0EEEbNS_6TensorES4_S4_lNS_14AccumulateTypeIT0_Lb1EE4typeES8_NS0_13TensorArgTypeES9_S9_EUllE_EEvNS0_6detail10TensorInfoIT_T1_EESF_NSC_IKS6_SE_EElS8_S8_SE_T6_
	.globl	_ZN2at4cuda17kernelHistogram1DIlalLi1ELi2ELin1ELNS0_23CUDAHistogramMemoryTypeE0EZNS0_21CUDA_tensor_histogramIlaLb0EEEbNS_6TensorES4_S4_lNS_14AccumulateTypeIT0_Lb1EE4typeES8_NS0_13TensorArgTypeES9_S9_EUllE_EEvNS0_6detail10TensorInfoIT_T1_EESF_NSC_IKS6_SE_EElS8_S8_SE_T6_
	.p2align	8
	.type	_ZN2at4cuda17kernelHistogram1DIlalLi1ELi2ELin1ELNS0_23CUDAHistogramMemoryTypeE0EZNS0_21CUDA_tensor_histogramIlaLb0EEEbNS_6TensorES4_S4_lNS_14AccumulateTypeIT0_Lb1EE4typeES8_NS0_13TensorArgTypeES9_S9_EUllE_EEvNS0_6detail10TensorInfoIT_T1_EESF_NSC_IKS6_SE_EElS8_S8_SE_T6_,@function
_ZN2at4cuda17kernelHistogram1DIlalLi1ELi2ELin1ELNS0_23CUDAHistogramMemoryTypeE0EZNS0_21CUDA_tensor_histogramIlaLb0EEEbNS_6TensorES4_S4_lNS_14AccumulateTypeIT0_Lb1EE4typeES8_NS0_13TensorArgTypeES9_S9_EUllE_EEvNS0_6detail10TensorInfoIT_T1_EESF_NSC_IKS6_SE_EElS8_S8_SE_T6_: ; @_ZN2at4cuda17kernelHistogram1DIlalLi1ELi2ELin1ELNS0_23CUDAHistogramMemoryTypeE0EZNS0_21CUDA_tensor_histogramIlaLb0EEEbNS_6TensorES4_S4_lNS_14AccumulateTypeIT0_Lb1EE4typeES8_NS0_13TensorArgTypeES9_S9_EUllE_EEvNS0_6detail10TensorInfoIT_T1_EESF_NSC_IKS6_SE_EElS8_S8_SE_T6_
; %bb.0:
	s_load_dwordx4 s[16:19], s[4:5], 0x0
	s_load_dwordx2 s[20:21], s[4:5], 0x500
	s_load_dwordx8 s[8:15], s[4:5], 0x4e0
	v_mov_b32_e32 v1, 0
	s_add_u32 s2, s4, 0x6a0
	s_waitcnt lgkmcnt(0)
	v_cmp_gt_i64_e64 s[0:1], s[18:19], v[0:1]
	v_cmp_le_i64_e32 vcc, s[18:19], v[0:1]
	s_addc_u32 s3, s5, 0
                                        ; implicit-def: $sgpr7
                                        ; implicit-def: $sgpr28
	s_and_saveexec_b64 s[22:23], vcc
	s_xor_b64 s[22:23], exec, s[22:23]
	s_cbranch_execz .LBB16_2
; %bb.1:
	s_load_dword s7, s[2:3], 0xc
	s_waitcnt lgkmcnt(0)
	s_and_b32 s28, s7, 0xffff
.LBB16_2:
	s_or_saveexec_b64 s[26:27], s[22:23]
	s_load_dwordx2 s[22:23], s[4:5], 0xd0
	s_load_dwordx2 s[24:25], s[4:5], 0x5d0
	v_mov_b32_e32 v7, s7
	v_mov_b32_e32 v15, s28
	v_lshl_add_u32 v14, v0, 3, 0
	s_xor_b64 exec, exec, s[26:27]
	s_cbranch_execz .LBB16_6
; %bb.3:
	s_load_dword s7, s[2:3], 0xc
	s_mov_b32 s33, 0
	v_mov_b32_e32 v2, 0
	v_lshl_add_u32 v6, v0, 3, 0
	s_mov_b64 s[28:29], 0
	s_waitcnt lgkmcnt(0)
	s_and_b32 s30, s7, 0xffff
	s_lshl_b32 s31, s30, 3
	v_mov_b32_e32 v3, v2
	v_mov_b32_e32 v7, s33
	v_pk_mov_b32 v[4:5], v[0:1], v[0:1] op_sel:[0,1]
.LBB16_4:                               ; =>This Inner Loop Header: Depth=1
	v_add_co_u32_e32 v4, vcc, s30, v4
	v_addc_co_u32_e32 v5, vcc, v5, v7, vcc
	v_cmp_le_i64_e32 vcc, s[18:19], v[4:5]
	ds_write_b64 v6, v[2:3]
	s_or_b64 s[28:29], vcc, s[28:29]
	v_add_u32_e32 v6, s31, v6
	s_andn2_b64 exec, exec, s[28:29]
	s_cbranch_execnz .LBB16_4
; %bb.5:
	s_or_b64 exec, exec, s[28:29]
	v_mov_b32_e32 v7, s7
	v_mov_b32_e32 v15, s30
.LBB16_6:
	s_or_b64 exec, exec, s[26:27]
	v_mad_u64_u32 v[2:3], s[6:7], s6, v15, v[0:1]
	v_mov_b32_e32 v4, 0
	v_mov_b32_e32 v3, v4
	v_cmp_gt_i64_e32 vcc, s[14:15], v[2:3]
	s_waitcnt lgkmcnt(0)
	s_barrier
	s_and_saveexec_b64 s[6:7], vcc
	s_cbranch_execz .LBB16_22
; %bb.7:
	s_load_dword s30, s[4:5], 0x4d8
	s_load_dwordx2 s[26:27], s[4:5], 0x410
	s_load_dwordx2 s[28:29], s[4:5], 0x340
	s_add_u32 s31, s4, 0x340
	s_addc_u32 s35, s5, 0
	s_waitcnt lgkmcnt(0)
	s_cmp_gt_i32 s30, 1
	s_load_dword s34, s[2:3], 0x0
	s_cselect_b64 s[2:3], -1, 0
	s_sub_u32 s33, s12, s10
	s_subb_u32 s46, s13, s11
	s_mov_b32 s5, 0
	s_add_i32 s4, s30, -1
	s_add_i32 s47, s30, 1
	s_lshl_b64 s[4:5], s[4:5], 3
	s_add_u32 s4, s4, s31
	s_addc_u32 s5, s5, s35
	s_add_u32 s30, s4, 8
	v_cndmask_b32_e64 v5, 0, 1, s[2:3]
	s_waitcnt lgkmcnt(0)
	v_mul_lo_u32 v6, s34, v15
	s_addc_u32 s31, s5, 0
	s_mov_b64 s[34:35], 0
	v_cmp_ne_u32_e64 s[2:3], 1, v5
	s_branch .LBB16_10
.LBB16_8:                               ;   in Loop: Header=BB16_10 Depth=1
	s_or_b64 exec, exec, s[4:5]
	v_mul_lo_u32 v5, v3, s24
	v_mul_lo_u32 v11, v2, s25
	v_mad_u64_u32 v[8:9], s[4:5], v2, s24, 0
	v_add3_u32 v9, v9, v11, v5
	v_lshlrev_b64 v[8:9], 3, v[8:9]
	v_mov_b32_e32 v5, s21
	v_add_co_u32_e32 v8, vcc, s20, v8
	v_addc_co_u32_e32 v9, vcc, v5, v9, vcc
	global_load_dwordx2 v[8:9], v[8:9], off
	v_ashrrev_i32_e32 v11, 31, v10
	v_cmp_eq_u64_e32 vcc, s[8:9], v[10:11]
	v_subbrev_co_u32_e32 v5, vcc, 0, v10, vcc
	v_lshl_add_u32 v5, v5, 3, 0
	s_waitcnt vmcnt(0)
	ds_add_u64 v5, v[8:9]
.LBB16_9:                               ;   in Loop: Header=BB16_10 Depth=1
	s_or_b64 exec, exec, s[36:37]
	v_add_co_u32_e32 v2, vcc, v2, v6
	v_addc_co_u32_e32 v3, vcc, 0, v3, vcc
	v_cmp_le_i64_e32 vcc, s[14:15], v[2:3]
	s_or_b64 s[34:35], vcc, s[34:35]
	s_andn2_b64 exec, exec, s[34:35]
	s_cbranch_execz .LBB16_22
.LBB16_10:                              ; =>This Loop Header: Depth=1
                                        ;     Child Loop BB16_11 Depth 2
	s_and_b64 vcc, exec, s[2:3]
	v_pk_mov_b32 v[8:9], 0, 0
	s_mov_b64 s[36:37], s[30:31]
	s_mov_b32 s48, s47
	v_pk_mov_b32 v[10:11], v[2:3], v[2:3] op_sel:[0,1]
	v_pk_mov_b32 v[12:13], v[2:3], v[2:3] op_sel:[0,1]
	s_cbranch_vccnz .LBB16_17
.LBB16_11:                              ;   Parent Loop BB16_10 Depth=1
                                        ; =>  This Inner Loop Header: Depth=2
	s_load_dwordx2 s[38:39], s[36:37], 0x0
                                        ; implicit-def: $vgpr12_vgpr13
	s_waitcnt lgkmcnt(0)
	v_or_b32_e32 v5, s39, v11
	v_cmp_ne_u64_e32 vcc, 0, v[4:5]
	s_and_saveexec_b64 s[4:5], vcc
	s_xor_b64 s[40:41], exec, s[4:5]
	s_cbranch_execz .LBB16_13
; %bb.12:                               ;   in Loop: Header=BB16_11 Depth=2
	s_ashr_i32 s42, s39, 31
	s_add_u32 s4, s38, s42
	s_mov_b32 s43, s42
	s_addc_u32 s5, s39, s42
	s_xor_b64 s[44:45], s[4:5], s[42:43]
	v_cvt_f32_u32_e32 v5, s44
	v_cvt_f32_u32_e32 v12, s45
	s_sub_u32 s4, 0, s44
	s_subb_u32 s5, 0, s45
	v_mac_f32_e32 v5, 0x4f800000, v12
	v_rcp_f32_e32 v5, v5
	v_mul_f32_e32 v5, 0x5f7ffffc, v5
	v_mul_f32_e32 v12, 0x2f800000, v5
	v_trunc_f32_e32 v12, v12
	v_mac_f32_e32 v5, 0xcf800000, v12
	v_cvt_u32_f32_e32 v12, v12
	v_cvt_u32_f32_e32 v5, v5
	v_mul_lo_u32 v13, s4, v12
	v_mul_hi_u32 v17, s4, v5
	v_mul_lo_u32 v16, s5, v5
	v_add_u32_e32 v13, v17, v13
	v_mul_lo_u32 v18, s4, v5
	v_add_u32_e32 v13, v13, v16
	v_mul_lo_u32 v17, v5, v13
	v_mul_hi_u32 v19, v5, v18
	v_mul_hi_u32 v16, v5, v13
	v_add_co_u32_e32 v17, vcc, v19, v17
	v_addc_co_u32_e32 v16, vcc, 0, v16, vcc
	v_mul_hi_u32 v20, v12, v18
	v_mul_lo_u32 v18, v12, v18
	v_add_co_u32_e32 v17, vcc, v17, v18
	v_mul_hi_u32 v19, v12, v13
	v_addc_co_u32_e32 v16, vcc, v16, v20, vcc
	v_addc_co_u32_e32 v17, vcc, 0, v19, vcc
	v_mul_lo_u32 v13, v12, v13
	v_add_co_u32_e32 v13, vcc, v16, v13
	v_addc_co_u32_e32 v16, vcc, 0, v17, vcc
	v_add_co_u32_e32 v5, vcc, v5, v13
	v_addc_co_u32_e32 v12, vcc, v12, v16, vcc
	v_mul_lo_u32 v13, s4, v12
	v_mul_hi_u32 v16, s4, v5
	v_add_u32_e32 v13, v16, v13
	v_mul_lo_u32 v16, s5, v5
	v_add_u32_e32 v13, v13, v16
	v_mul_lo_u32 v17, s4, v5
	v_mul_hi_u32 v18, v12, v17
	v_mul_lo_u32 v19, v12, v17
	v_mul_lo_u32 v21, v5, v13
	v_mul_hi_u32 v17, v5, v17
	v_mul_hi_u32 v20, v5, v13
	v_add_co_u32_e32 v17, vcc, v17, v21
	v_addc_co_u32_e32 v20, vcc, 0, v20, vcc
	v_add_co_u32_e32 v17, vcc, v17, v19
	v_mul_hi_u32 v16, v12, v13
	v_addc_co_u32_e32 v17, vcc, v20, v18, vcc
	v_addc_co_u32_e32 v16, vcc, 0, v16, vcc
	v_mul_lo_u32 v13, v12, v13
	v_add_co_u32_e32 v13, vcc, v17, v13
	v_addc_co_u32_e32 v16, vcc, 0, v16, vcc
	v_add_co_u32_e32 v5, vcc, v5, v13
	v_addc_co_u32_e32 v16, vcc, v12, v16, vcc
	v_ashrrev_i32_e32 v18, 31, v11
	v_add_co_u32_e32 v12, vcc, v10, v18
	v_addc_co_u32_e32 v13, vcc, v11, v18, vcc
	v_xor_b32_e32 v20, v12, v18
	v_xor_b32_e32 v19, v13, v18
	v_mad_u64_u32 v[12:13], s[4:5], v20, v16, 0
	v_mul_hi_u32 v17, v20, v5
	v_add_co_u32_e32 v21, vcc, v17, v12
	v_addc_co_u32_e32 v22, vcc, 0, v13, vcc
	v_mad_u64_u32 v[12:13], s[4:5], v19, v16, 0
	v_mad_u64_u32 v[16:17], s[4:5], v19, v5, 0
	v_add_co_u32_e32 v5, vcc, v21, v16
	v_addc_co_u32_e32 v5, vcc, v22, v17, vcc
	v_addc_co_u32_e32 v13, vcc, 0, v13, vcc
	v_add_co_u32_e32 v5, vcc, v5, v12
	v_addc_co_u32_e32 v16, vcc, 0, v13, vcc
	v_mul_lo_u32 v17, s45, v5
	v_mul_lo_u32 v21, s44, v16
	v_mad_u64_u32 v[12:13], s[4:5], s44, v5, 0
	v_add3_u32 v13, v13, v21, v17
	v_sub_u32_e32 v17, v19, v13
	v_mov_b32_e32 v21, s45
	v_sub_co_u32_e32 v12, vcc, v20, v12
	v_subb_co_u32_e64 v17, s[4:5], v17, v21, vcc
	v_subrev_co_u32_e64 v20, s[4:5], s44, v12
	v_subbrev_co_u32_e64 v17, s[4:5], 0, v17, s[4:5]
	v_cmp_le_u32_e64 s[4:5], s45, v17
	v_cndmask_b32_e64 v21, 0, -1, s[4:5]
	v_cmp_le_u32_e64 s[4:5], s44, v20
	v_cndmask_b32_e64 v20, 0, -1, s[4:5]
	v_cmp_eq_u32_e64 s[4:5], s45, v17
	v_cndmask_b32_e64 v17, v21, v20, s[4:5]
	v_add_co_u32_e64 v20, s[4:5], 2, v5
	v_subb_co_u32_e32 v13, vcc, v19, v13, vcc
	v_addc_co_u32_e64 v21, s[4:5], 0, v16, s[4:5]
	v_cmp_le_u32_e32 vcc, s45, v13
	v_add_co_u32_e64 v22, s[4:5], 1, v5
	v_cndmask_b32_e64 v19, 0, -1, vcc
	v_cmp_le_u32_e32 vcc, s44, v12
	v_addc_co_u32_e64 v23, s[4:5], 0, v16, s[4:5]
	v_cndmask_b32_e64 v12, 0, -1, vcc
	v_cmp_eq_u32_e32 vcc, s45, v13
	v_cmp_ne_u32_e64 s[4:5], 0, v17
	v_cndmask_b32_e32 v12, v19, v12, vcc
	v_cmp_ne_u32_e32 vcc, 0, v12
	v_cndmask_b32_e64 v13, v22, v20, s[4:5]
	v_cndmask_b32_e64 v17, v23, v21, s[4:5]
	v_cndmask_b32_e32 v5, v5, v13, vcc
	v_xor_b32_e32 v13, s42, v18
	v_cndmask_b32_e32 v12, v16, v17, vcc
	v_xor_b32_e32 v5, v5, v13
	v_xor_b32_e32 v16, v12, v13
	v_sub_co_u32_e32 v12, vcc, v5, v13
	v_subb_co_u32_e32 v13, vcc, v16, v13, vcc
.LBB16_13:                              ;   in Loop: Header=BB16_11 Depth=2
	s_andn2_saveexec_b64 s[4:5], s[40:41]
	s_cbranch_execz .LBB16_15
; %bb.14:                               ;   in Loop: Header=BB16_11 Depth=2
	v_cvt_f32_u32_e32 v5, s38
	s_sub_i32 s40, 0, s38
	v_rcp_iflag_f32_e32 v5, v5
	v_mul_f32_e32 v5, 0x4f7ffffe, v5
	v_cvt_u32_f32_e32 v5, v5
	v_mul_lo_u32 v12, s40, v5
	v_mul_hi_u32 v12, v5, v12
	v_add_u32_e32 v5, v5, v12
	v_mul_hi_u32 v5, v10, v5
	v_mul_lo_u32 v12, v5, s38
	v_sub_u32_e32 v12, v10, v12
	v_add_u32_e32 v13, 1, v5
	v_subrev_u32_e32 v16, s38, v12
	v_cmp_le_u32_e32 vcc, s38, v12
	v_cndmask_b32_e32 v12, v12, v16, vcc
	v_cndmask_b32_e32 v5, v5, v13, vcc
	v_add_u32_e32 v13, 1, v5
	v_cmp_le_u32_e32 vcc, s38, v12
	v_cndmask_b32_e32 v12, v5, v13, vcc
	v_mov_b32_e32 v13, v4
.LBB16_15:                              ;   in Loop: Header=BB16_11 Depth=2
	s_or_b64 exec, exec, s[4:5]
	v_mad_u64_u32 v[16:17], s[4:5], v12, s38, 0
	s_load_dwordx2 s[4:5], s[36:37], 0xc8
	v_mul_lo_u32 v5, v13, s38
	v_mul_lo_u32 v18, v12, s39
	v_add3_u32 v5, v17, v18, v5
	v_sub_co_u32_e32 v10, vcc, v10, v16
	s_add_i32 s48, s48, -1
	v_subb_co_u32_e32 v5, vcc, v11, v5, vcc
	s_add_u32 s36, s36, -8
	s_waitcnt lgkmcnt(0)
	v_mul_lo_u32 v5, s4, v5
	v_mul_lo_u32 v11, s5, v10
	v_mad_u64_u32 v[8:9], s[4:5], s4, v10, v[8:9]
	s_addc_u32 s37, s37, -1
	s_cmp_gt_u32 s48, 2
	v_add3_u32 v9, v11, v9, v5
	s_cbranch_scc0 .LBB16_17
; %bb.16:                               ;   in Loop: Header=BB16_11 Depth=2
	v_pk_mov_b32 v[10:11], v[12:13], v[12:13] op_sel:[0,1]
	s_branch .LBB16_11
.LBB16_17:                              ;   in Loop: Header=BB16_10 Depth=1
	v_pk_mov_b32 v[10:11], s[28:29], s[28:29] op_sel:[0,1]
	v_mad_u64_u32 v[10:11], s[4:5], s26, v12, v[10:11]
	v_mul_lo_u32 v5, s26, v13
	v_mul_lo_u32 v12, s27, v12
	v_add3_u32 v5, v12, v11, v5
	v_add_co_u32_e32 v8, vcc, v10, v8
	v_addc_co_u32_e32 v9, vcc, v5, v9, vcc
	global_load_sbyte v5, v[8:9], off
	s_waitcnt vmcnt(0)
	v_bfe_i32 v8, v5, 0, 16
	v_ashrrev_i32_e32 v9, 31, v8
	v_cmp_le_i64_e32 vcc, s[10:11], v[8:9]
	v_cmp_ge_i64_e64 s[4:5], s[12:13], v[8:9]
	s_and_b64 s[4:5], vcc, s[4:5]
	s_and_saveexec_b64 s[36:37], s[4:5]
	s_cbranch_execz .LBB16_9
; %bb.18:                               ;   in Loop: Header=BB16_10 Depth=1
	v_mov_b32_e32 v5, s11
	v_subrev_co_u32_e32 v8, vcc, s10, v8
	v_subb_co_u32_e32 v5, vcc, v9, v5, vcc
	v_mul_lo_u32 v5, v5, s8
	v_mul_lo_u32 v10, v8, s9
	v_mad_u64_u32 v[8:9], s[4:5], v8, s8, 0
	v_add3_u32 v9, v9, v10, v5
	v_or_b32_e32 v5, s46, v9
	v_cmp_ne_u64_e32 vcc, 0, v[4:5]
                                        ; implicit-def: $vgpr10_vgpr11
	s_and_saveexec_b64 s[4:5], vcc
	s_xor_b64 s[38:39], exec, s[4:5]
	s_cbranch_execz .LBB16_20
; %bb.19:                               ;   in Loop: Header=BB16_10 Depth=1
	s_ashr_i32 s40, s46, 31
	s_add_u32 s4, s33, s40
	s_mov_b32 s41, s40
	s_addc_u32 s5, s46, s40
	s_xor_b64 s[42:43], s[4:5], s[40:41]
	v_cvt_f32_u32_e32 v5, s42
	v_cvt_f32_u32_e32 v10, s43
	s_sub_u32 s4, 0, s42
	s_subb_u32 s5, 0, s43
	v_mac_f32_e32 v5, 0x4f800000, v10
	v_rcp_f32_e32 v5, v5
	v_mul_f32_e32 v5, 0x5f7ffffc, v5
	v_mul_f32_e32 v10, 0x2f800000, v5
	v_trunc_f32_e32 v10, v10
	v_mac_f32_e32 v5, 0xcf800000, v10
	v_cvt_u32_f32_e32 v10, v10
	v_cvt_u32_f32_e32 v5, v5
	v_mul_lo_u32 v11, s4, v10
	v_mul_hi_u32 v13, s4, v5
	v_mul_lo_u32 v12, s5, v5
	v_add_u32_e32 v11, v13, v11
	v_mul_lo_u32 v16, s4, v5
	v_add_u32_e32 v11, v11, v12
	v_mul_lo_u32 v13, v5, v11
	v_mul_hi_u32 v17, v5, v16
	v_mul_hi_u32 v12, v5, v11
	v_add_co_u32_e32 v13, vcc, v17, v13
	v_addc_co_u32_e32 v12, vcc, 0, v12, vcc
	v_mul_hi_u32 v18, v10, v16
	v_mul_lo_u32 v16, v10, v16
	v_add_co_u32_e32 v13, vcc, v13, v16
	v_mul_hi_u32 v17, v10, v11
	v_addc_co_u32_e32 v12, vcc, v12, v18, vcc
	v_addc_co_u32_e32 v13, vcc, 0, v17, vcc
	v_mul_lo_u32 v11, v10, v11
	v_add_co_u32_e32 v11, vcc, v12, v11
	v_addc_co_u32_e32 v12, vcc, 0, v13, vcc
	v_add_co_u32_e32 v5, vcc, v5, v11
	v_addc_co_u32_e32 v10, vcc, v10, v12, vcc
	v_mul_lo_u32 v11, s4, v10
	v_mul_hi_u32 v12, s4, v5
	v_add_u32_e32 v11, v12, v11
	v_mul_lo_u32 v12, s5, v5
	v_add_u32_e32 v11, v11, v12
	v_mul_lo_u32 v13, s4, v5
	v_mul_hi_u32 v16, v10, v13
	v_mul_lo_u32 v17, v10, v13
	v_mul_lo_u32 v19, v5, v11
	v_mul_hi_u32 v13, v5, v13
	v_mul_hi_u32 v18, v5, v11
	v_add_co_u32_e32 v13, vcc, v13, v19
	v_addc_co_u32_e32 v18, vcc, 0, v18, vcc
	v_add_co_u32_e32 v13, vcc, v13, v17
	v_mul_hi_u32 v12, v10, v11
	v_addc_co_u32_e32 v13, vcc, v18, v16, vcc
	v_addc_co_u32_e32 v12, vcc, 0, v12, vcc
	v_mul_lo_u32 v11, v10, v11
	v_add_co_u32_e32 v11, vcc, v13, v11
	v_addc_co_u32_e32 v12, vcc, 0, v12, vcc
	v_add_co_u32_e32 v5, vcc, v5, v11
	v_addc_co_u32_e32 v10, vcc, v10, v12, vcc
	v_ashrrev_i32_e32 v12, 31, v9
	v_add_co_u32_e32 v8, vcc, v8, v12
	v_addc_co_u32_e32 v9, vcc, v9, v12, vcc
	v_xor_b32_e32 v16, v8, v12
	v_xor_b32_e32 v13, v9, v12
	v_mad_u64_u32 v[8:9], s[4:5], v16, v10, 0
	v_mul_hi_u32 v11, v16, v5
	v_add_co_u32_e32 v17, vcc, v11, v8
	v_addc_co_u32_e32 v18, vcc, 0, v9, vcc
	v_mad_u64_u32 v[8:9], s[4:5], v13, v10, 0
	v_mad_u64_u32 v[10:11], s[4:5], v13, v5, 0
	v_add_co_u32_e32 v5, vcc, v17, v10
	v_addc_co_u32_e32 v5, vcc, v18, v11, vcc
	v_addc_co_u32_e32 v9, vcc, 0, v9, vcc
	v_add_co_u32_e32 v5, vcc, v5, v8
	v_addc_co_u32_e32 v8, vcc, 0, v9, vcc
	v_mul_lo_u32 v10, s43, v5
	v_mul_lo_u32 v11, s42, v8
	v_mad_u64_u32 v[8:9], s[4:5], s42, v5, 0
	v_add3_u32 v9, v9, v11, v10
	v_sub_u32_e32 v10, v13, v9
	v_mov_b32_e32 v11, s43
	v_sub_co_u32_e32 v8, vcc, v16, v8
	v_subb_co_u32_e64 v10, s[4:5], v10, v11, vcc
	v_subrev_co_u32_e64 v11, s[4:5], s42, v8
	v_subbrev_co_u32_e64 v10, s[4:5], 0, v10, s[4:5]
	v_cmp_le_u32_e64 s[4:5], s43, v10
	v_subb_co_u32_e32 v9, vcc, v13, v9, vcc
	v_cndmask_b32_e64 v16, 0, -1, s[4:5]
	v_cmp_le_u32_e64 s[4:5], s42, v11
	v_cmp_le_u32_e32 vcc, s43, v9
	v_cndmask_b32_e64 v11, 0, -1, s[4:5]
	v_cmp_eq_u32_e64 s[4:5], s43, v10
	v_cndmask_b32_e64 v13, 0, -1, vcc
	v_cmp_le_u32_e32 vcc, s42, v8
	v_cndmask_b32_e64 v10, v16, v11, s[4:5]
	v_cndmask_b32_e64 v8, 0, -1, vcc
	v_cmp_eq_u32_e32 vcc, s43, v9
	v_add_co_u32_e64 v11, s[4:5], 2, v5
	v_add_co_u32_e64 v16, s[4:5], 1, v5
	v_cndmask_b32_e32 v8, v13, v8, vcc
	v_cmp_ne_u32_e32 vcc, 0, v10
	v_cndmask_b32_e32 v9, v16, v11, vcc
	v_cmp_ne_u32_e32 vcc, 0, v8
	v_cndmask_b32_e32 v5, v5, v9, vcc
	v_xor_b32_e32 v8, s40, v12
	v_xor_b32_e32 v5, v5, v8
	v_sub_co_u32_e32 v10, vcc, v5, v8
                                        ; implicit-def: $vgpr8_vgpr9
.LBB16_20:                              ;   in Loop: Header=BB16_10 Depth=1
	s_andn2_saveexec_b64 s[4:5], s[38:39]
	s_cbranch_execz .LBB16_8
; %bb.21:                               ;   in Loop: Header=BB16_10 Depth=1
	v_cvt_f32_u32_e32 v5, s33
	s_sub_i32 s38, 0, s33
	v_rcp_iflag_f32_e32 v5, v5
	v_mul_f32_e32 v5, 0x4f7ffffe, v5
	v_cvt_u32_f32_e32 v5, v5
	v_mul_lo_u32 v9, s38, v5
	v_mul_hi_u32 v9, v5, v9
	v_add_u32_e32 v5, v5, v9
	v_mul_hi_u32 v5, v8, v5
	v_mul_lo_u32 v9, v5, s33
	v_sub_u32_e32 v8, v8, v9
	v_add_u32_e32 v10, 1, v5
	v_subrev_u32_e32 v9, s33, v8
	v_cmp_le_u32_e32 vcc, s33, v8
	v_cndmask_b32_e32 v8, v8, v9, vcc
	v_cndmask_b32_e32 v5, v5, v10, vcc
	v_add_u32_e32 v9, 1, v5
	v_cmp_le_u32_e32 vcc, s33, v8
	v_cndmask_b32_e32 v10, v5, v9, vcc
	s_branch .LBB16_8
.LBB16_22:
	s_or_b64 exec, exec, s[6:7]
; %bb.23:
	s_waitcnt lgkmcnt(0)
	s_barrier
	s_and_saveexec_b64 s[2:3], s[0:1]
	s_cbranch_execz .LBB16_26
; %bb.24:
	v_mad_u64_u32 v[4:5], s[0:1], s22, v0, 0
	v_mov_b32_e32 v6, v5
	v_and_b32_e32 v2, 0xffff, v7
	v_mad_u64_u32 v[6:7], s[0:1], s23, v0, v[6:7]
	v_mov_b32_e32 v5, v6
	v_mad_u64_u32 v[6:7], s[0:1], s22, v2, 0
	v_mov_b32_e32 v8, v7
	v_lshlrev_b64 v[4:5], 3, v[4:5]
	v_mad_u64_u32 v[8:9], s[0:1], s23, v2, v[8:9]
	v_mov_b32_e32 v3, s17
	v_add_co_u32_e32 v4, vcc, s16, v4
	v_mov_b32_e32 v7, v8
	v_addc_co_u32_e32 v5, vcc, v3, v5, vcc
	v_lshlrev_b64 v[6:7], 3, v[6:7]
	v_lshlrev_b32_e32 v3, 3, v15
	s_mov_b64 s[0:1], 0
.LBB16_25:                              ; =>This Inner Loop Header: Depth=1
	ds_read_b64 v[8:9], v14
	v_add_co_u32_e32 v0, vcc, v0, v2
	v_addc_co_u32_e32 v1, vcc, 0, v1, vcc
	s_waitcnt lgkmcnt(0)
	global_atomic_add_x2 v[4:5], v[8:9], off
	v_cmp_le_i64_e32 vcc, s[18:19], v[0:1]
	s_or_b64 s[0:1], vcc, s[0:1]
	v_add_co_u32_e32 v4, vcc, v4, v6
	v_add_u32_e32 v14, v14, v3
	v_addc_co_u32_e32 v5, vcc, v5, v7, vcc
	s_andn2_b64 exec, exec, s[0:1]
	s_cbranch_execnz .LBB16_25
.LBB16_26:
	s_endpgm
	.section	.rodata,"a",@progbits
	.p2align	6, 0x0
	.amdhsa_kernel _ZN2at4cuda17kernelHistogram1DIlalLi1ELi2ELin1ELNS0_23CUDAHistogramMemoryTypeE0EZNS0_21CUDA_tensor_histogramIlaLb0EEEbNS_6TensorES4_S4_lNS_14AccumulateTypeIT0_Lb1EE4typeES8_NS0_13TensorArgTypeES9_S9_EUllE_EEvNS0_6detail10TensorInfoIT_T1_EESF_NSC_IKS6_SE_EElS8_S8_SE_T6_
		.amdhsa_group_segment_fixed_size 0
		.amdhsa_private_segment_fixed_size 0
		.amdhsa_kernarg_size 1952
		.amdhsa_user_sgpr_count 6
		.amdhsa_user_sgpr_private_segment_buffer 1
		.amdhsa_user_sgpr_dispatch_ptr 0
		.amdhsa_user_sgpr_queue_ptr 0
		.amdhsa_user_sgpr_kernarg_segment_ptr 1
		.amdhsa_user_sgpr_dispatch_id 0
		.amdhsa_user_sgpr_flat_scratch_init 0
		.amdhsa_user_sgpr_kernarg_preload_length 0
		.amdhsa_user_sgpr_kernarg_preload_offset 0
		.amdhsa_user_sgpr_private_segment_size 0
		.amdhsa_uses_dynamic_stack 0
		.amdhsa_system_sgpr_private_segment_wavefront_offset 0
		.amdhsa_system_sgpr_workgroup_id_x 1
		.amdhsa_system_sgpr_workgroup_id_y 0
		.amdhsa_system_sgpr_workgroup_id_z 0
		.amdhsa_system_sgpr_workgroup_info 0
		.amdhsa_system_vgpr_workitem_id 0
		.amdhsa_next_free_vgpr 24
		.amdhsa_next_free_sgpr 49
		.amdhsa_accum_offset 24
		.amdhsa_reserve_vcc 1
		.amdhsa_reserve_flat_scratch 0
		.amdhsa_float_round_mode_32 0
		.amdhsa_float_round_mode_16_64 0
		.amdhsa_float_denorm_mode_32 3
		.amdhsa_float_denorm_mode_16_64 3
		.amdhsa_dx10_clamp 1
		.amdhsa_ieee_mode 1
		.amdhsa_fp16_overflow 0
		.amdhsa_tg_split 0
		.amdhsa_exception_fp_ieee_invalid_op 0
		.amdhsa_exception_fp_denorm_src 0
		.amdhsa_exception_fp_ieee_div_zero 0
		.amdhsa_exception_fp_ieee_overflow 0
		.amdhsa_exception_fp_ieee_underflow 0
		.amdhsa_exception_fp_ieee_inexact 0
		.amdhsa_exception_int_div_zero 0
	.end_amdhsa_kernel
	.section	.text._ZN2at4cuda17kernelHistogram1DIlalLi1ELi2ELin1ELNS0_23CUDAHistogramMemoryTypeE0EZNS0_21CUDA_tensor_histogramIlaLb0EEEbNS_6TensorES4_S4_lNS_14AccumulateTypeIT0_Lb1EE4typeES8_NS0_13TensorArgTypeES9_S9_EUllE_EEvNS0_6detail10TensorInfoIT_T1_EESF_NSC_IKS6_SE_EElS8_S8_SE_T6_,"axG",@progbits,_ZN2at4cuda17kernelHistogram1DIlalLi1ELi2ELin1ELNS0_23CUDAHistogramMemoryTypeE0EZNS0_21CUDA_tensor_histogramIlaLb0EEEbNS_6TensorES4_S4_lNS_14AccumulateTypeIT0_Lb1EE4typeES8_NS0_13TensorArgTypeES9_S9_EUllE_EEvNS0_6detail10TensorInfoIT_T1_EESF_NSC_IKS6_SE_EElS8_S8_SE_T6_,comdat
.Lfunc_end16:
	.size	_ZN2at4cuda17kernelHistogram1DIlalLi1ELi2ELin1ELNS0_23CUDAHistogramMemoryTypeE0EZNS0_21CUDA_tensor_histogramIlaLb0EEEbNS_6TensorES4_S4_lNS_14AccumulateTypeIT0_Lb1EE4typeES8_NS0_13TensorArgTypeES9_S9_EUllE_EEvNS0_6detail10TensorInfoIT_T1_EESF_NSC_IKS6_SE_EElS8_S8_SE_T6_, .Lfunc_end16-_ZN2at4cuda17kernelHistogram1DIlalLi1ELi2ELin1ELNS0_23CUDAHistogramMemoryTypeE0EZNS0_21CUDA_tensor_histogramIlaLb0EEEbNS_6TensorES4_S4_lNS_14AccumulateTypeIT0_Lb1EE4typeES8_NS0_13TensorArgTypeES9_S9_EUllE_EEvNS0_6detail10TensorInfoIT_T1_EESF_NSC_IKS6_SE_EElS8_S8_SE_T6_
                                        ; -- End function
	.section	.AMDGPU.csdata,"",@progbits
; Kernel info:
; codeLenInByte = 2568
; NumSgprs: 53
; NumVgprs: 24
; NumAgprs: 0
; TotalNumVgprs: 24
; ScratchSize: 0
; MemoryBound: 0
; FloatMode: 240
; IeeeMode: 1
; LDSByteSize: 0 bytes/workgroup (compile time only)
; SGPRBlocks: 6
; VGPRBlocks: 2
; NumSGPRsForWavesPerEU: 53
; NumVGPRsForWavesPerEU: 24
; AccumOffset: 24
; Occupancy: 8
; WaveLimiterHint : 1
; COMPUTE_PGM_RSRC2:SCRATCH_EN: 0
; COMPUTE_PGM_RSRC2:USER_SGPR: 6
; COMPUTE_PGM_RSRC2:TRAP_HANDLER: 0
; COMPUTE_PGM_RSRC2:TGID_X_EN: 1
; COMPUTE_PGM_RSRC2:TGID_Y_EN: 0
; COMPUTE_PGM_RSRC2:TGID_Z_EN: 0
; COMPUTE_PGM_RSRC2:TIDIG_COMP_CNT: 0
; COMPUTE_PGM_RSRC3_GFX90A:ACCUM_OFFSET: 5
; COMPUTE_PGM_RSRC3_GFX90A:TG_SPLIT: 0
	.section	.text._ZN2at4cuda17kernelHistogram1DIlalLi1ELi2ELin1ELNS0_23CUDAHistogramMemoryTypeE1EZNS0_21CUDA_tensor_histogramIlaLb0EEEbNS_6TensorES4_S4_lNS_14AccumulateTypeIT0_Lb1EE4typeES8_NS0_13TensorArgTypeES9_S9_EUllE_EEvNS0_6detail10TensorInfoIT_T1_EESF_NSC_IKS6_SE_EElS8_S8_SE_T6_,"axG",@progbits,_ZN2at4cuda17kernelHistogram1DIlalLi1ELi2ELin1ELNS0_23CUDAHistogramMemoryTypeE1EZNS0_21CUDA_tensor_histogramIlaLb0EEEbNS_6TensorES4_S4_lNS_14AccumulateTypeIT0_Lb1EE4typeES8_NS0_13TensorArgTypeES9_S9_EUllE_EEvNS0_6detail10TensorInfoIT_T1_EESF_NSC_IKS6_SE_EElS8_S8_SE_T6_,comdat
	.protected	_ZN2at4cuda17kernelHistogram1DIlalLi1ELi2ELin1ELNS0_23CUDAHistogramMemoryTypeE1EZNS0_21CUDA_tensor_histogramIlaLb0EEEbNS_6TensorES4_S4_lNS_14AccumulateTypeIT0_Lb1EE4typeES8_NS0_13TensorArgTypeES9_S9_EUllE_EEvNS0_6detail10TensorInfoIT_T1_EESF_NSC_IKS6_SE_EElS8_S8_SE_T6_ ; -- Begin function _ZN2at4cuda17kernelHistogram1DIlalLi1ELi2ELin1ELNS0_23CUDAHistogramMemoryTypeE1EZNS0_21CUDA_tensor_histogramIlaLb0EEEbNS_6TensorES4_S4_lNS_14AccumulateTypeIT0_Lb1EE4typeES8_NS0_13TensorArgTypeES9_S9_EUllE_EEvNS0_6detail10TensorInfoIT_T1_EESF_NSC_IKS6_SE_EElS8_S8_SE_T6_
	.globl	_ZN2at4cuda17kernelHistogram1DIlalLi1ELi2ELin1ELNS0_23CUDAHistogramMemoryTypeE1EZNS0_21CUDA_tensor_histogramIlaLb0EEEbNS_6TensorES4_S4_lNS_14AccumulateTypeIT0_Lb1EE4typeES8_NS0_13TensorArgTypeES9_S9_EUllE_EEvNS0_6detail10TensorInfoIT_T1_EESF_NSC_IKS6_SE_EElS8_S8_SE_T6_
	.p2align	8
	.type	_ZN2at4cuda17kernelHistogram1DIlalLi1ELi2ELin1ELNS0_23CUDAHistogramMemoryTypeE1EZNS0_21CUDA_tensor_histogramIlaLb0EEEbNS_6TensorES4_S4_lNS_14AccumulateTypeIT0_Lb1EE4typeES8_NS0_13TensorArgTypeES9_S9_EUllE_EEvNS0_6detail10TensorInfoIT_T1_EESF_NSC_IKS6_SE_EElS8_S8_SE_T6_,@function
_ZN2at4cuda17kernelHistogram1DIlalLi1ELi2ELin1ELNS0_23CUDAHistogramMemoryTypeE1EZNS0_21CUDA_tensor_histogramIlaLb0EEEbNS_6TensorES4_S4_lNS_14AccumulateTypeIT0_Lb1EE4typeES8_NS0_13TensorArgTypeES9_S9_EUllE_EEvNS0_6detail10TensorInfoIT_T1_EESF_NSC_IKS6_SE_EElS8_S8_SE_T6_: ; @_ZN2at4cuda17kernelHistogram1DIlalLi1ELi2ELin1ELNS0_23CUDAHistogramMemoryTypeE1EZNS0_21CUDA_tensor_histogramIlaLb0EEEbNS_6TensorES4_S4_lNS_14AccumulateTypeIT0_Lb1EE4typeES8_NS0_13TensorArgTypeES9_S9_EUllE_EEvNS0_6detail10TensorInfoIT_T1_EESF_NSC_IKS6_SE_EElS8_S8_SE_T6_
; %bb.0:
	s_load_dword s2, s[4:5], 0x6ac
	s_load_dwordx8 s[8:15], s[4:5], 0x4e0
	s_add_u32 s0, s4, 0x6a0
	s_addc_u32 s1, s5, 0
	v_mov_b32_e32 v2, 0
	s_waitcnt lgkmcnt(0)
	s_and_b32 s2, s2, 0xffff
	s_mul_i32 s6, s6, s2
	v_add_u32_e32 v0, s6, v0
	v_mov_b32_e32 v1, v2
	v_cmp_gt_i64_e32 vcc, s[14:15], v[0:1]
	s_and_saveexec_b64 s[6:7], vcc
	s_cbranch_execz .LBB17_16
; %bb.1:
	s_load_dwordx2 s[6:7], s[4:5], 0x5d0
	s_load_dwordx2 s[16:17], s[4:5], 0x500
	s_load_dword s3, s[4:5], 0x4d8
	s_load_dwordx2 s[18:19], s[4:5], 0x0
	s_load_dwordx2 s[20:21], s[4:5], 0xd0
	s_load_dword s28, s[0:1], 0x0
	s_add_u32 s26, s4, 0x340
	s_addc_u32 s27, s5, 0
	s_mov_b32 s42, 0
	s_waitcnt lgkmcnt(0)
	s_cmp_gt_i32 s3, 1
	s_cselect_b64 s[0:1], -1, 0
	s_sub_u32 s33, s12, s10
	s_subb_u32 s40, s13, s11
	s_mul_i32 s41, s28, s2
	s_add_i32 s43, s3, 1
	s_add_i32 s2, s3, -1
	s_mov_b32 s3, s42
	s_load_dwordx2 s[22:23], s[4:5], 0x410
	s_load_dwordx2 s[24:25], s[4:5], 0x340
	s_lshl_b64 s[2:3], s[2:3], 3
	s_add_u32 s2, s2, s26
	s_addc_u32 s3, s3, s27
	s_add_u32 s4, s2, 8
	v_cndmask_b32_e64 v3, 0, 1, s[0:1]
	s_addc_u32 s5, s3, 0
	s_mov_b64 s[26:27], 0
	v_cmp_ne_u32_e64 s[0:1], 1, v3
	s_branch .LBB17_4
.LBB17_2:                               ;   in Loop: Header=BB17_4 Depth=1
	s_or_b64 exec, exec, s[2:3]
	v_mul_lo_u32 v3, v1, s6
	v_mul_lo_u32 v7, v0, s7
	v_mad_u64_u32 v[4:5], s[2:3], v0, s6, 0
	v_add3_u32 v5, v5, v7, v3
	v_lshlrev_b64 v[4:5], 3, v[4:5]
	v_mov_b32_e32 v3, s17
	v_add_co_u32_e32 v4, vcc, s16, v4
	v_addc_co_u32_e32 v5, vcc, v3, v5, vcc
	global_load_dwordx2 v[4:5], v[4:5], off
	v_ashrrev_i32_e32 v7, 31, v6
	v_cmp_eq_u64_e32 vcc, s[8:9], v[6:7]
	v_cndmask_b32_e64 v3, 0, 1, vcc
	v_sub_co_u32_e32 v3, vcc, v6, v3
	v_subbrev_co_u32_e32 v6, vcc, 0, v7, vcc
	v_mul_lo_u32 v8, v6, s20
	v_mul_lo_u32 v9, v3, s21
	v_mad_u64_u32 v[6:7], s[2:3], v3, s20, 0
	v_add3_u32 v7, v7, v9, v8
	v_lshlrev_b64 v[6:7], 3, v[6:7]
	v_mov_b32_e32 v3, s19
	v_add_co_u32_e32 v6, vcc, s18, v6
	v_addc_co_u32_e32 v7, vcc, v3, v7, vcc
	s_waitcnt vmcnt(0)
	global_atomic_add_x2 v[6:7], v[4:5], off
.LBB17_3:                               ;   in Loop: Header=BB17_4 Depth=1
	s_or_b64 exec, exec, s[28:29]
	v_mov_b32_e32 v3, s42
	v_add_co_u32_e32 v0, vcc, s41, v0
	v_addc_co_u32_e32 v1, vcc, v1, v3, vcc
	v_cmp_le_i64_e32 vcc, s[14:15], v[0:1]
	s_or_b64 s[26:27], vcc, s[26:27]
	s_andn2_b64 exec, exec, s[26:27]
	s_cbranch_execz .LBB17_16
.LBB17_4:                               ; =>This Loop Header: Depth=1
                                        ;     Child Loop BB17_5 Depth 2
	s_and_b64 vcc, exec, s[0:1]
	v_pk_mov_b32 v[4:5], 0, 0
	s_mov_b64 s[28:29], s[4:5]
	s_mov_b32 s44, s43
	v_pk_mov_b32 v[6:7], v[0:1], v[0:1] op_sel:[0,1]
	v_pk_mov_b32 v[8:9], v[0:1], v[0:1] op_sel:[0,1]
	s_cbranch_vccnz .LBB17_11
.LBB17_5:                               ;   Parent Loop BB17_4 Depth=1
                                        ; =>  This Inner Loop Header: Depth=2
	s_load_dwordx2 s[30:31], s[28:29], 0x0
                                        ; implicit-def: $vgpr8_vgpr9
	s_waitcnt lgkmcnt(0)
	v_or_b32_e32 v3, s31, v7
	v_cmp_ne_u64_e32 vcc, 0, v[2:3]
	s_and_saveexec_b64 s[2:3], vcc
	s_xor_b64 s[34:35], exec, s[2:3]
	s_cbranch_execz .LBB17_7
; %bb.6:                                ;   in Loop: Header=BB17_5 Depth=2
	s_ashr_i32 s36, s31, 31
	s_add_u32 s2, s30, s36
	s_mov_b32 s37, s36
	s_addc_u32 s3, s31, s36
	s_xor_b64 s[38:39], s[2:3], s[36:37]
	v_cvt_f32_u32_e32 v3, s38
	v_cvt_f32_u32_e32 v8, s39
	s_sub_u32 s2, 0, s38
	s_subb_u32 s3, 0, s39
	v_mac_f32_e32 v3, 0x4f800000, v8
	v_rcp_f32_e32 v3, v3
	v_mul_f32_e32 v3, 0x5f7ffffc, v3
	v_mul_f32_e32 v8, 0x2f800000, v3
	v_trunc_f32_e32 v8, v8
	v_mac_f32_e32 v3, 0xcf800000, v8
	v_cvt_u32_f32_e32 v8, v8
	v_cvt_u32_f32_e32 v3, v3
	v_mul_lo_u32 v9, s2, v8
	v_mul_hi_u32 v11, s2, v3
	v_mul_lo_u32 v10, s3, v3
	v_add_u32_e32 v9, v11, v9
	v_mul_lo_u32 v12, s2, v3
	v_add_u32_e32 v9, v9, v10
	v_mul_lo_u32 v11, v3, v9
	v_mul_hi_u32 v13, v3, v12
	v_mul_hi_u32 v10, v3, v9
	v_add_co_u32_e32 v11, vcc, v13, v11
	v_addc_co_u32_e32 v10, vcc, 0, v10, vcc
	v_mul_hi_u32 v14, v8, v12
	v_mul_lo_u32 v12, v8, v12
	v_add_co_u32_e32 v11, vcc, v11, v12
	v_mul_hi_u32 v13, v8, v9
	v_addc_co_u32_e32 v10, vcc, v10, v14, vcc
	v_addc_co_u32_e32 v11, vcc, 0, v13, vcc
	v_mul_lo_u32 v9, v8, v9
	v_add_co_u32_e32 v9, vcc, v10, v9
	v_addc_co_u32_e32 v10, vcc, 0, v11, vcc
	v_add_co_u32_e32 v3, vcc, v3, v9
	v_addc_co_u32_e32 v8, vcc, v8, v10, vcc
	v_mul_lo_u32 v9, s2, v8
	v_mul_hi_u32 v10, s2, v3
	v_add_u32_e32 v9, v10, v9
	v_mul_lo_u32 v10, s3, v3
	v_add_u32_e32 v9, v9, v10
	v_mul_lo_u32 v11, s2, v3
	v_mul_hi_u32 v12, v8, v11
	v_mul_lo_u32 v13, v8, v11
	v_mul_lo_u32 v15, v3, v9
	v_mul_hi_u32 v11, v3, v11
	v_mul_hi_u32 v14, v3, v9
	v_add_co_u32_e32 v11, vcc, v11, v15
	v_addc_co_u32_e32 v14, vcc, 0, v14, vcc
	v_add_co_u32_e32 v11, vcc, v11, v13
	v_mul_hi_u32 v10, v8, v9
	v_addc_co_u32_e32 v11, vcc, v14, v12, vcc
	v_addc_co_u32_e32 v10, vcc, 0, v10, vcc
	v_mul_lo_u32 v9, v8, v9
	v_add_co_u32_e32 v9, vcc, v11, v9
	v_addc_co_u32_e32 v10, vcc, 0, v10, vcc
	v_add_co_u32_e32 v3, vcc, v3, v9
	v_addc_co_u32_e32 v10, vcc, v8, v10, vcc
	v_ashrrev_i32_e32 v12, 31, v7
	v_add_co_u32_e32 v8, vcc, v6, v12
	v_addc_co_u32_e32 v9, vcc, v7, v12, vcc
	v_xor_b32_e32 v14, v8, v12
	v_xor_b32_e32 v13, v9, v12
	v_mad_u64_u32 v[8:9], s[2:3], v14, v10, 0
	v_mul_hi_u32 v11, v14, v3
	v_add_co_u32_e32 v15, vcc, v11, v8
	v_addc_co_u32_e32 v16, vcc, 0, v9, vcc
	v_mad_u64_u32 v[8:9], s[2:3], v13, v10, 0
	v_mad_u64_u32 v[10:11], s[2:3], v13, v3, 0
	v_add_co_u32_e32 v3, vcc, v15, v10
	v_addc_co_u32_e32 v3, vcc, v16, v11, vcc
	v_addc_co_u32_e32 v9, vcc, 0, v9, vcc
	v_add_co_u32_e32 v3, vcc, v3, v8
	v_addc_co_u32_e32 v10, vcc, 0, v9, vcc
	v_mul_lo_u32 v11, s39, v3
	v_mul_lo_u32 v15, s38, v10
	v_mad_u64_u32 v[8:9], s[2:3], s38, v3, 0
	v_add3_u32 v9, v9, v15, v11
	v_sub_u32_e32 v11, v13, v9
	v_mov_b32_e32 v15, s39
	v_sub_co_u32_e32 v8, vcc, v14, v8
	v_subb_co_u32_e64 v11, s[2:3], v11, v15, vcc
	v_subrev_co_u32_e64 v14, s[2:3], s38, v8
	v_subbrev_co_u32_e64 v11, s[2:3], 0, v11, s[2:3]
	v_cmp_le_u32_e64 s[2:3], s39, v11
	v_cndmask_b32_e64 v15, 0, -1, s[2:3]
	v_cmp_le_u32_e64 s[2:3], s38, v14
	v_cndmask_b32_e64 v14, 0, -1, s[2:3]
	v_cmp_eq_u32_e64 s[2:3], s39, v11
	v_cndmask_b32_e64 v11, v15, v14, s[2:3]
	v_add_co_u32_e64 v14, s[2:3], 2, v3
	v_subb_co_u32_e32 v9, vcc, v13, v9, vcc
	v_addc_co_u32_e64 v15, s[2:3], 0, v10, s[2:3]
	v_cmp_le_u32_e32 vcc, s39, v9
	v_add_co_u32_e64 v16, s[2:3], 1, v3
	v_cndmask_b32_e64 v13, 0, -1, vcc
	v_cmp_le_u32_e32 vcc, s38, v8
	v_addc_co_u32_e64 v17, s[2:3], 0, v10, s[2:3]
	v_cndmask_b32_e64 v8, 0, -1, vcc
	v_cmp_eq_u32_e32 vcc, s39, v9
	v_cmp_ne_u32_e64 s[2:3], 0, v11
	v_cndmask_b32_e32 v8, v13, v8, vcc
	v_cmp_ne_u32_e32 vcc, 0, v8
	v_cndmask_b32_e64 v9, v16, v14, s[2:3]
	v_cndmask_b32_e64 v11, v17, v15, s[2:3]
	v_cndmask_b32_e32 v3, v3, v9, vcc
	v_xor_b32_e32 v9, s36, v12
	v_cndmask_b32_e32 v8, v10, v11, vcc
	v_xor_b32_e32 v3, v3, v9
	v_xor_b32_e32 v10, v8, v9
	v_sub_co_u32_e32 v8, vcc, v3, v9
	v_subb_co_u32_e32 v9, vcc, v10, v9, vcc
.LBB17_7:                               ;   in Loop: Header=BB17_5 Depth=2
	s_andn2_saveexec_b64 s[2:3], s[34:35]
	s_cbranch_execz .LBB17_9
; %bb.8:                                ;   in Loop: Header=BB17_5 Depth=2
	v_cvt_f32_u32_e32 v3, s30
	s_sub_i32 s34, 0, s30
	v_rcp_iflag_f32_e32 v3, v3
	v_mul_f32_e32 v3, 0x4f7ffffe, v3
	v_cvt_u32_f32_e32 v3, v3
	v_mul_lo_u32 v8, s34, v3
	v_mul_hi_u32 v8, v3, v8
	v_add_u32_e32 v3, v3, v8
	v_mul_hi_u32 v3, v6, v3
	v_mul_lo_u32 v8, v3, s30
	v_sub_u32_e32 v8, v6, v8
	v_add_u32_e32 v9, 1, v3
	v_subrev_u32_e32 v10, s30, v8
	v_cmp_le_u32_e32 vcc, s30, v8
	v_cndmask_b32_e32 v8, v8, v10, vcc
	v_cndmask_b32_e32 v3, v3, v9, vcc
	v_add_u32_e32 v9, 1, v3
	v_cmp_le_u32_e32 vcc, s30, v8
	v_cndmask_b32_e32 v8, v3, v9, vcc
	v_mov_b32_e32 v9, v2
.LBB17_9:                               ;   in Loop: Header=BB17_5 Depth=2
	s_or_b64 exec, exec, s[2:3]
	v_mad_u64_u32 v[10:11], s[2:3], v8, s30, 0
	s_load_dwordx2 s[2:3], s[28:29], 0xc8
	v_mul_lo_u32 v3, v9, s30
	v_mul_lo_u32 v12, v8, s31
	v_add3_u32 v3, v11, v12, v3
	v_sub_co_u32_e32 v6, vcc, v6, v10
	s_add_i32 s44, s44, -1
	v_subb_co_u32_e32 v3, vcc, v7, v3, vcc
	s_add_u32 s28, s28, -8
	s_waitcnt lgkmcnt(0)
	v_mul_lo_u32 v3, s2, v3
	v_mul_lo_u32 v7, s3, v6
	v_mad_u64_u32 v[4:5], s[2:3], s2, v6, v[4:5]
	s_addc_u32 s29, s29, -1
	s_cmp_gt_u32 s44, 2
	v_add3_u32 v5, v7, v5, v3
	s_cbranch_scc0 .LBB17_11
; %bb.10:                               ;   in Loop: Header=BB17_5 Depth=2
	v_pk_mov_b32 v[6:7], v[8:9], v[8:9] op_sel:[0,1]
	s_branch .LBB17_5
.LBB17_11:                              ;   in Loop: Header=BB17_4 Depth=1
	s_waitcnt lgkmcnt(0)
	v_pk_mov_b32 v[6:7], s[24:25], s[24:25] op_sel:[0,1]
	v_mad_u64_u32 v[6:7], s[2:3], s22, v8, v[6:7]
	v_mul_lo_u32 v3, s22, v9
	v_mul_lo_u32 v8, s23, v8
	v_add3_u32 v3, v8, v7, v3
	v_add_co_u32_e32 v4, vcc, v6, v4
	v_addc_co_u32_e32 v5, vcc, v3, v5, vcc
	global_load_sbyte v3, v[4:5], off
	s_waitcnt vmcnt(0)
	v_bfe_i32 v4, v3, 0, 16
	v_ashrrev_i32_e32 v5, 31, v4
	v_cmp_le_i64_e32 vcc, s[10:11], v[4:5]
	v_cmp_ge_i64_e64 s[2:3], s[12:13], v[4:5]
	s_and_b64 s[2:3], vcc, s[2:3]
	s_and_saveexec_b64 s[28:29], s[2:3]
	s_cbranch_execz .LBB17_3
; %bb.12:                               ;   in Loop: Header=BB17_4 Depth=1
	v_mov_b32_e32 v3, s11
	v_subrev_co_u32_e32 v4, vcc, s10, v4
	v_subb_co_u32_e32 v3, vcc, v5, v3, vcc
	v_mul_lo_u32 v3, v3, s8
	v_mul_lo_u32 v6, v4, s9
	v_mad_u64_u32 v[4:5], s[2:3], v4, s8, 0
	v_add3_u32 v5, v5, v6, v3
	v_or_b32_e32 v3, s40, v5
	v_cmp_ne_u64_e32 vcc, 0, v[2:3]
                                        ; implicit-def: $vgpr6_vgpr7
	s_and_saveexec_b64 s[2:3], vcc
	s_xor_b64 s[30:31], exec, s[2:3]
	s_cbranch_execz .LBB17_14
; %bb.13:                               ;   in Loop: Header=BB17_4 Depth=1
	s_ashr_i32 s34, s40, 31
	s_add_u32 s2, s33, s34
	s_mov_b32 s35, s34
	s_addc_u32 s3, s40, s34
	s_xor_b64 s[36:37], s[2:3], s[34:35]
	v_cvt_f32_u32_e32 v3, s36
	v_cvt_f32_u32_e32 v6, s37
	s_sub_u32 s2, 0, s36
	s_subb_u32 s3, 0, s37
	v_mac_f32_e32 v3, 0x4f800000, v6
	v_rcp_f32_e32 v3, v3
	v_mul_f32_e32 v3, 0x5f7ffffc, v3
	v_mul_f32_e32 v6, 0x2f800000, v3
	v_trunc_f32_e32 v6, v6
	v_mac_f32_e32 v3, 0xcf800000, v6
	v_cvt_u32_f32_e32 v6, v6
	v_cvt_u32_f32_e32 v3, v3
	v_mul_lo_u32 v7, s2, v6
	v_mul_hi_u32 v9, s2, v3
	v_mul_lo_u32 v8, s3, v3
	v_add_u32_e32 v7, v9, v7
	v_mul_lo_u32 v10, s2, v3
	v_add_u32_e32 v7, v7, v8
	v_mul_lo_u32 v9, v3, v7
	v_mul_hi_u32 v11, v3, v10
	v_mul_hi_u32 v8, v3, v7
	v_add_co_u32_e32 v9, vcc, v11, v9
	v_addc_co_u32_e32 v8, vcc, 0, v8, vcc
	v_mul_hi_u32 v12, v6, v10
	v_mul_lo_u32 v10, v6, v10
	v_add_co_u32_e32 v9, vcc, v9, v10
	v_mul_hi_u32 v11, v6, v7
	v_addc_co_u32_e32 v8, vcc, v8, v12, vcc
	v_addc_co_u32_e32 v9, vcc, 0, v11, vcc
	v_mul_lo_u32 v7, v6, v7
	v_add_co_u32_e32 v7, vcc, v8, v7
	v_addc_co_u32_e32 v8, vcc, 0, v9, vcc
	v_add_co_u32_e32 v3, vcc, v3, v7
	v_addc_co_u32_e32 v6, vcc, v6, v8, vcc
	v_mul_lo_u32 v7, s2, v6
	v_mul_hi_u32 v8, s2, v3
	v_add_u32_e32 v7, v8, v7
	v_mul_lo_u32 v8, s3, v3
	v_add_u32_e32 v7, v7, v8
	v_mul_lo_u32 v9, s2, v3
	v_mul_hi_u32 v10, v6, v9
	v_mul_lo_u32 v11, v6, v9
	v_mul_lo_u32 v13, v3, v7
	v_mul_hi_u32 v9, v3, v9
	v_mul_hi_u32 v12, v3, v7
	v_add_co_u32_e32 v9, vcc, v9, v13
	v_addc_co_u32_e32 v12, vcc, 0, v12, vcc
	v_add_co_u32_e32 v9, vcc, v9, v11
	v_mul_hi_u32 v8, v6, v7
	v_addc_co_u32_e32 v9, vcc, v12, v10, vcc
	v_addc_co_u32_e32 v8, vcc, 0, v8, vcc
	v_mul_lo_u32 v7, v6, v7
	v_add_co_u32_e32 v7, vcc, v9, v7
	v_addc_co_u32_e32 v8, vcc, 0, v8, vcc
	v_add_co_u32_e32 v3, vcc, v3, v7
	v_addc_co_u32_e32 v6, vcc, v6, v8, vcc
	v_ashrrev_i32_e32 v8, 31, v5
	v_add_co_u32_e32 v4, vcc, v4, v8
	v_addc_co_u32_e32 v5, vcc, v5, v8, vcc
	v_xor_b32_e32 v10, v4, v8
	v_xor_b32_e32 v9, v5, v8
	v_mad_u64_u32 v[4:5], s[2:3], v10, v6, 0
	v_mul_hi_u32 v7, v10, v3
	v_add_co_u32_e32 v11, vcc, v7, v4
	v_addc_co_u32_e32 v12, vcc, 0, v5, vcc
	v_mad_u64_u32 v[4:5], s[2:3], v9, v6, 0
	v_mad_u64_u32 v[6:7], s[2:3], v9, v3, 0
	v_add_co_u32_e32 v3, vcc, v11, v6
	v_addc_co_u32_e32 v3, vcc, v12, v7, vcc
	v_addc_co_u32_e32 v5, vcc, 0, v5, vcc
	v_add_co_u32_e32 v3, vcc, v3, v4
	v_addc_co_u32_e32 v4, vcc, 0, v5, vcc
	v_mul_lo_u32 v6, s37, v3
	v_mul_lo_u32 v7, s36, v4
	v_mad_u64_u32 v[4:5], s[2:3], s36, v3, 0
	v_add3_u32 v5, v5, v7, v6
	v_sub_u32_e32 v6, v9, v5
	v_mov_b32_e32 v7, s37
	v_sub_co_u32_e32 v4, vcc, v10, v4
	v_subb_co_u32_e64 v6, s[2:3], v6, v7, vcc
	v_subrev_co_u32_e64 v7, s[2:3], s36, v4
	v_subbrev_co_u32_e64 v6, s[2:3], 0, v6, s[2:3]
	v_cmp_le_u32_e64 s[2:3], s37, v6
	v_subb_co_u32_e32 v5, vcc, v9, v5, vcc
	v_cndmask_b32_e64 v10, 0, -1, s[2:3]
	v_cmp_le_u32_e64 s[2:3], s36, v7
	v_cmp_le_u32_e32 vcc, s37, v5
	v_cndmask_b32_e64 v7, 0, -1, s[2:3]
	v_cmp_eq_u32_e64 s[2:3], s37, v6
	v_cndmask_b32_e64 v9, 0, -1, vcc
	v_cmp_le_u32_e32 vcc, s36, v4
	v_cndmask_b32_e64 v6, v10, v7, s[2:3]
	v_cndmask_b32_e64 v4, 0, -1, vcc
	v_cmp_eq_u32_e32 vcc, s37, v5
	v_add_co_u32_e64 v7, s[2:3], 2, v3
	v_add_co_u32_e64 v10, s[2:3], 1, v3
	v_cndmask_b32_e32 v4, v9, v4, vcc
	v_cmp_ne_u32_e32 vcc, 0, v6
	v_cndmask_b32_e32 v5, v10, v7, vcc
	v_cmp_ne_u32_e32 vcc, 0, v4
	v_cndmask_b32_e32 v3, v3, v5, vcc
	v_xor_b32_e32 v4, s34, v8
	v_xor_b32_e32 v3, v3, v4
	v_sub_co_u32_e32 v6, vcc, v3, v4
                                        ; implicit-def: $vgpr4_vgpr5
.LBB17_14:                              ;   in Loop: Header=BB17_4 Depth=1
	s_andn2_saveexec_b64 s[2:3], s[30:31]
	s_cbranch_execz .LBB17_2
; %bb.15:                               ;   in Loop: Header=BB17_4 Depth=1
	v_cvt_f32_u32_e32 v3, s33
	s_sub_i32 s30, 0, s33
	v_rcp_iflag_f32_e32 v3, v3
	v_mul_f32_e32 v3, 0x4f7ffffe, v3
	v_cvt_u32_f32_e32 v3, v3
	v_mul_lo_u32 v5, s30, v3
	v_mul_hi_u32 v5, v3, v5
	v_add_u32_e32 v3, v3, v5
	v_mul_hi_u32 v3, v4, v3
	v_mul_lo_u32 v5, v3, s33
	v_sub_u32_e32 v4, v4, v5
	v_add_u32_e32 v6, 1, v3
	v_subrev_u32_e32 v5, s33, v4
	v_cmp_le_u32_e32 vcc, s33, v4
	v_cndmask_b32_e32 v4, v4, v5, vcc
	v_cndmask_b32_e32 v3, v3, v6, vcc
	v_add_u32_e32 v5, 1, v3
	v_cmp_le_u32_e32 vcc, s33, v4
	v_cndmask_b32_e32 v6, v3, v5, vcc
	s_branch .LBB17_2
.LBB17_16:
	s_endpgm
	.section	.rodata,"a",@progbits
	.p2align	6, 0x0
	.amdhsa_kernel _ZN2at4cuda17kernelHistogram1DIlalLi1ELi2ELin1ELNS0_23CUDAHistogramMemoryTypeE1EZNS0_21CUDA_tensor_histogramIlaLb0EEEbNS_6TensorES4_S4_lNS_14AccumulateTypeIT0_Lb1EE4typeES8_NS0_13TensorArgTypeES9_S9_EUllE_EEvNS0_6detail10TensorInfoIT_T1_EESF_NSC_IKS6_SE_EElS8_S8_SE_T6_
		.amdhsa_group_segment_fixed_size 0
		.amdhsa_private_segment_fixed_size 0
		.amdhsa_kernarg_size 1952
		.amdhsa_user_sgpr_count 6
		.amdhsa_user_sgpr_private_segment_buffer 1
		.amdhsa_user_sgpr_dispatch_ptr 0
		.amdhsa_user_sgpr_queue_ptr 0
		.amdhsa_user_sgpr_kernarg_segment_ptr 1
		.amdhsa_user_sgpr_dispatch_id 0
		.amdhsa_user_sgpr_flat_scratch_init 0
		.amdhsa_user_sgpr_kernarg_preload_length 0
		.amdhsa_user_sgpr_kernarg_preload_offset 0
		.amdhsa_user_sgpr_private_segment_size 0
		.amdhsa_uses_dynamic_stack 0
		.amdhsa_system_sgpr_private_segment_wavefront_offset 0
		.amdhsa_system_sgpr_workgroup_id_x 1
		.amdhsa_system_sgpr_workgroup_id_y 0
		.amdhsa_system_sgpr_workgroup_id_z 0
		.amdhsa_system_sgpr_workgroup_info 0
		.amdhsa_system_vgpr_workitem_id 0
		.amdhsa_next_free_vgpr 18
		.amdhsa_next_free_sgpr 45
		.amdhsa_accum_offset 20
		.amdhsa_reserve_vcc 1
		.amdhsa_reserve_flat_scratch 0
		.amdhsa_float_round_mode_32 0
		.amdhsa_float_round_mode_16_64 0
		.amdhsa_float_denorm_mode_32 3
		.amdhsa_float_denorm_mode_16_64 3
		.amdhsa_dx10_clamp 1
		.amdhsa_ieee_mode 1
		.amdhsa_fp16_overflow 0
		.amdhsa_tg_split 0
		.amdhsa_exception_fp_ieee_invalid_op 0
		.amdhsa_exception_fp_denorm_src 0
		.amdhsa_exception_fp_ieee_div_zero 0
		.amdhsa_exception_fp_ieee_overflow 0
		.amdhsa_exception_fp_ieee_underflow 0
		.amdhsa_exception_fp_ieee_inexact 0
		.amdhsa_exception_int_div_zero 0
	.end_amdhsa_kernel
	.section	.text._ZN2at4cuda17kernelHistogram1DIlalLi1ELi2ELin1ELNS0_23CUDAHistogramMemoryTypeE1EZNS0_21CUDA_tensor_histogramIlaLb0EEEbNS_6TensorES4_S4_lNS_14AccumulateTypeIT0_Lb1EE4typeES8_NS0_13TensorArgTypeES9_S9_EUllE_EEvNS0_6detail10TensorInfoIT_T1_EESF_NSC_IKS6_SE_EElS8_S8_SE_T6_,"axG",@progbits,_ZN2at4cuda17kernelHistogram1DIlalLi1ELi2ELin1ELNS0_23CUDAHistogramMemoryTypeE1EZNS0_21CUDA_tensor_histogramIlaLb0EEEbNS_6TensorES4_S4_lNS_14AccumulateTypeIT0_Lb1EE4typeES8_NS0_13TensorArgTypeES9_S9_EUllE_EEvNS0_6detail10TensorInfoIT_T1_EESF_NSC_IKS6_SE_EElS8_S8_SE_T6_,comdat
.Lfunc_end17:
	.size	_ZN2at4cuda17kernelHistogram1DIlalLi1ELi2ELin1ELNS0_23CUDAHistogramMemoryTypeE1EZNS0_21CUDA_tensor_histogramIlaLb0EEEbNS_6TensorES4_S4_lNS_14AccumulateTypeIT0_Lb1EE4typeES8_NS0_13TensorArgTypeES9_S9_EUllE_EEvNS0_6detail10TensorInfoIT_T1_EESF_NSC_IKS6_SE_EElS8_S8_SE_T6_, .Lfunc_end17-_ZN2at4cuda17kernelHistogram1DIlalLi1ELi2ELin1ELNS0_23CUDAHistogramMemoryTypeE1EZNS0_21CUDA_tensor_histogramIlaLb0EEEbNS_6TensorES4_S4_lNS_14AccumulateTypeIT0_Lb1EE4typeES8_NS0_13TensorArgTypeES9_S9_EUllE_EEvNS0_6detail10TensorInfoIT_T1_EESF_NSC_IKS6_SE_EElS8_S8_SE_T6_
                                        ; -- End function
	.section	.AMDGPU.csdata,"",@progbits
; Kernel info:
; codeLenInByte = 2280
; NumSgprs: 49
; NumVgprs: 18
; NumAgprs: 0
; TotalNumVgprs: 18
; ScratchSize: 0
; MemoryBound: 0
; FloatMode: 240
; IeeeMode: 1
; LDSByteSize: 0 bytes/workgroup (compile time only)
; SGPRBlocks: 6
; VGPRBlocks: 2
; NumSGPRsForWavesPerEU: 49
; NumVGPRsForWavesPerEU: 18
; AccumOffset: 20
; Occupancy: 8
; WaveLimiterHint : 1
; COMPUTE_PGM_RSRC2:SCRATCH_EN: 0
; COMPUTE_PGM_RSRC2:USER_SGPR: 6
; COMPUTE_PGM_RSRC2:TRAP_HANDLER: 0
; COMPUTE_PGM_RSRC2:TGID_X_EN: 1
; COMPUTE_PGM_RSRC2:TGID_Y_EN: 0
; COMPUTE_PGM_RSRC2:TGID_Z_EN: 0
; COMPUTE_PGM_RSRC2:TIDIG_COMP_CNT: 0
; COMPUTE_PGM_RSRC3_GFX90A:ACCUM_OFFSET: 4
; COMPUTE_PGM_RSRC3_GFX90A:TG_SPLIT: 0
	.section	.text._ZN2at4cuda17kernelHistogram1DIlalLi1ELi2ELin1ELNS0_23CUDAHistogramMemoryTypeE0EZNS0_21CUDA_tensor_histogramIlaLb0EEEbNS_6TensorES4_S4_lNS_14AccumulateTypeIT0_Lb1EE4typeES8_NS0_13TensorArgTypeES9_S9_EUllE0_EEvNS0_6detail10TensorInfoIT_T1_EESF_NSC_IKS6_SE_EElS8_S8_SE_T6_,"axG",@progbits,_ZN2at4cuda17kernelHistogram1DIlalLi1ELi2ELin1ELNS0_23CUDAHistogramMemoryTypeE0EZNS0_21CUDA_tensor_histogramIlaLb0EEEbNS_6TensorES4_S4_lNS_14AccumulateTypeIT0_Lb1EE4typeES8_NS0_13TensorArgTypeES9_S9_EUllE0_EEvNS0_6detail10TensorInfoIT_T1_EESF_NSC_IKS6_SE_EElS8_S8_SE_T6_,comdat
	.protected	_ZN2at4cuda17kernelHistogram1DIlalLi1ELi2ELin1ELNS0_23CUDAHistogramMemoryTypeE0EZNS0_21CUDA_tensor_histogramIlaLb0EEEbNS_6TensorES4_S4_lNS_14AccumulateTypeIT0_Lb1EE4typeES8_NS0_13TensorArgTypeES9_S9_EUllE0_EEvNS0_6detail10TensorInfoIT_T1_EESF_NSC_IKS6_SE_EElS8_S8_SE_T6_ ; -- Begin function _ZN2at4cuda17kernelHistogram1DIlalLi1ELi2ELin1ELNS0_23CUDAHistogramMemoryTypeE0EZNS0_21CUDA_tensor_histogramIlaLb0EEEbNS_6TensorES4_S4_lNS_14AccumulateTypeIT0_Lb1EE4typeES8_NS0_13TensorArgTypeES9_S9_EUllE0_EEvNS0_6detail10TensorInfoIT_T1_EESF_NSC_IKS6_SE_EElS8_S8_SE_T6_
	.globl	_ZN2at4cuda17kernelHistogram1DIlalLi1ELi2ELin1ELNS0_23CUDAHistogramMemoryTypeE0EZNS0_21CUDA_tensor_histogramIlaLb0EEEbNS_6TensorES4_S4_lNS_14AccumulateTypeIT0_Lb1EE4typeES8_NS0_13TensorArgTypeES9_S9_EUllE0_EEvNS0_6detail10TensorInfoIT_T1_EESF_NSC_IKS6_SE_EElS8_S8_SE_T6_
	.p2align	8
	.type	_ZN2at4cuda17kernelHistogram1DIlalLi1ELi2ELin1ELNS0_23CUDAHistogramMemoryTypeE0EZNS0_21CUDA_tensor_histogramIlaLb0EEEbNS_6TensorES4_S4_lNS_14AccumulateTypeIT0_Lb1EE4typeES8_NS0_13TensorArgTypeES9_S9_EUllE0_EEvNS0_6detail10TensorInfoIT_T1_EESF_NSC_IKS6_SE_EElS8_S8_SE_T6_,@function
_ZN2at4cuda17kernelHistogram1DIlalLi1ELi2ELin1ELNS0_23CUDAHistogramMemoryTypeE0EZNS0_21CUDA_tensor_histogramIlaLb0EEEbNS_6TensorES4_S4_lNS_14AccumulateTypeIT0_Lb1EE4typeES8_NS0_13TensorArgTypeES9_S9_EUllE0_EEvNS0_6detail10TensorInfoIT_T1_EESF_NSC_IKS6_SE_EElS8_S8_SE_T6_: ; @_ZN2at4cuda17kernelHistogram1DIlalLi1ELi2ELin1ELNS0_23CUDAHistogramMemoryTypeE0EZNS0_21CUDA_tensor_histogramIlaLb0EEEbNS_6TensorES4_S4_lNS_14AccumulateTypeIT0_Lb1EE4typeES8_NS0_13TensorArgTypeES9_S9_EUllE0_EEvNS0_6detail10TensorInfoIT_T1_EESF_NSC_IKS6_SE_EElS8_S8_SE_T6_
; %bb.0:
	s_load_dwordx4 s[16:19], s[4:5], 0x0
	v_mov_b32_e32 v1, 0
	s_add_u32 s2, s4, 0x508
	s_addc_u32 s3, s5, 0
                                        ; implicit-def: $sgpr7
                                        ; implicit-def: $sgpr10
	s_waitcnt lgkmcnt(0)
	v_cmp_gt_i64_e64 s[0:1], s[18:19], v[0:1]
	v_cmp_le_i64_e32 vcc, s[18:19], v[0:1]
	s_and_saveexec_b64 s[8:9], vcc
	s_xor_b64 s[8:9], exec, s[8:9]
	s_cbranch_execz .LBB18_2
; %bb.1:
	s_load_dword s7, s[2:3], 0xc
	s_waitcnt lgkmcnt(0)
	s_and_b32 s10, s7, 0xffff
.LBB18_2:
	s_or_saveexec_b64 s[8:9], s[8:9]
	s_load_dwordx2 s[20:21], s[4:5], 0xd0
	v_mov_b32_e32 v7, s7
	v_mov_b32_e32 v15, s10
	v_lshl_add_u32 v14, v0, 3, 0
	s_xor_b64 exec, exec, s[8:9]
	s_cbranch_execz .LBB18_6
; %bb.3:
	s_load_dword s7, s[2:3], 0xc
	s_mov_b32 s14, 0
	v_mov_b32_e32 v2, 0
	v_lshl_add_u32 v6, v0, 3, 0
	s_mov_b64 s[10:11], 0
	s_waitcnt lgkmcnt(0)
	s_and_b32 s12, s7, 0xffff
	s_lshl_b32 s13, s12, 3
	v_mov_b32_e32 v3, v2
	v_mov_b32_e32 v7, s14
	v_pk_mov_b32 v[4:5], v[0:1], v[0:1] op_sel:[0,1]
.LBB18_4:                               ; =>This Inner Loop Header: Depth=1
	v_add_co_u32_e32 v4, vcc, s12, v4
	v_addc_co_u32_e32 v5, vcc, v5, v7, vcc
	v_cmp_le_i64_e32 vcc, s[18:19], v[4:5]
	ds_write_b64 v6, v[2:3]
	s_or_b64 s[10:11], vcc, s[10:11]
	v_add_u32_e32 v6, s13, v6
	s_andn2_b64 exec, exec, s[10:11]
	s_cbranch_execnz .LBB18_4
; %bb.5:
	s_or_b64 exec, exec, s[10:11]
	v_mov_b32_e32 v7, s7
	v_mov_b32_e32 v15, s12
.LBB18_6:
	s_or_b64 exec, exec, s[8:9]
	s_load_dwordx8 s[8:15], s[4:5], 0x4e0
	v_mad_u64_u32 v[2:3], s[6:7], s6, v15, v[0:1]
	v_mov_b32_e32 v4, 0
	v_mov_b32_e32 v3, v4
	s_waitcnt lgkmcnt(0)
	v_cmp_gt_i64_e32 vcc, s[14:15], v[2:3]
	s_barrier
	s_and_saveexec_b64 s[6:7], vcc
	s_cbranch_execz .LBB18_22
; %bb.7:
	s_load_dword s26, s[4:5], 0x4d8
	s_load_dwordx2 s[22:23], s[4:5], 0x410
	s_load_dwordx2 s[24:25], s[4:5], 0x340
	s_add_u32 s27, s4, 0x340
	s_addc_u32 s29, s5, 0
	s_waitcnt lgkmcnt(0)
	s_cmp_gt_i32 s26, 1
	s_load_dword s28, s[2:3], 0x0
	s_cselect_b64 s[2:3], -1, 0
	s_sub_u32 s33, s12, s10
	s_subb_u32 s42, s13, s11
	s_mov_b32 s5, 0
	s_add_i32 s4, s26, -1
	s_add_i32 s43, s26, 1
	s_lshl_b64 s[4:5], s[4:5], 3
	s_add_u32 s4, s4, s27
	s_addc_u32 s5, s5, s29
	s_add_u32 s26, s4, 8
	v_cndmask_b32_e64 v5, 0, 1, s[2:3]
	s_waitcnt lgkmcnt(0)
	v_mul_lo_u32 v6, s28, v15
	s_addc_u32 s27, s5, 0
	s_mov_b64 s[28:29], 0
	v_cmp_ne_u32_e64 s[2:3], 1, v5
	s_branch .LBB18_10
.LBB18_8:                               ;   in Loop: Header=BB18_10 Depth=1
	s_or_b64 exec, exec, s[4:5]
	v_ashrrev_i32_e32 v11, 31, v10
	v_cmp_eq_u64_e32 vcc, s[8:9], v[10:11]
	v_subbrev_co_u32_e32 v5, vcc, 0, v10, vcc
	v_mov_b32_e32 v8, 1
	v_lshl_add_u32 v5, v5, 3, 0
	v_mov_b32_e32 v9, 0
	ds_add_u64 v5, v[8:9]
.LBB18_9:                               ;   in Loop: Header=BB18_10 Depth=1
	s_or_b64 exec, exec, s[30:31]
	v_add_co_u32_e32 v2, vcc, v2, v6
	v_addc_co_u32_e32 v3, vcc, 0, v3, vcc
	v_cmp_le_i64_e32 vcc, s[14:15], v[2:3]
	s_or_b64 s[28:29], vcc, s[28:29]
	s_andn2_b64 exec, exec, s[28:29]
	s_cbranch_execz .LBB18_22
.LBB18_10:                              ; =>This Loop Header: Depth=1
                                        ;     Child Loop BB18_11 Depth 2
	s_and_b64 vcc, exec, s[2:3]
	v_pk_mov_b32 v[8:9], 0, 0
	s_mov_b64 s[30:31], s[26:27]
	s_mov_b32 s44, s43
	v_pk_mov_b32 v[10:11], v[2:3], v[2:3] op_sel:[0,1]
	v_pk_mov_b32 v[12:13], v[2:3], v[2:3] op_sel:[0,1]
	s_cbranch_vccnz .LBB18_17
.LBB18_11:                              ;   Parent Loop BB18_10 Depth=1
                                        ; =>  This Inner Loop Header: Depth=2
	s_load_dwordx2 s[34:35], s[30:31], 0x0
                                        ; implicit-def: $vgpr12_vgpr13
	s_waitcnt lgkmcnt(0)
	v_or_b32_e32 v5, s35, v11
	v_cmp_ne_u64_e32 vcc, 0, v[4:5]
	s_and_saveexec_b64 s[4:5], vcc
	s_xor_b64 s[36:37], exec, s[4:5]
	s_cbranch_execz .LBB18_13
; %bb.12:                               ;   in Loop: Header=BB18_11 Depth=2
	s_ashr_i32 s38, s35, 31
	s_add_u32 s4, s34, s38
	s_mov_b32 s39, s38
	s_addc_u32 s5, s35, s38
	s_xor_b64 s[40:41], s[4:5], s[38:39]
	v_cvt_f32_u32_e32 v5, s40
	v_cvt_f32_u32_e32 v12, s41
	s_sub_u32 s4, 0, s40
	s_subb_u32 s5, 0, s41
	v_mac_f32_e32 v5, 0x4f800000, v12
	v_rcp_f32_e32 v5, v5
	v_mul_f32_e32 v5, 0x5f7ffffc, v5
	v_mul_f32_e32 v12, 0x2f800000, v5
	v_trunc_f32_e32 v12, v12
	v_mac_f32_e32 v5, 0xcf800000, v12
	v_cvt_u32_f32_e32 v12, v12
	v_cvt_u32_f32_e32 v5, v5
	v_mul_lo_u32 v13, s4, v12
	v_mul_hi_u32 v17, s4, v5
	v_mul_lo_u32 v16, s5, v5
	v_add_u32_e32 v13, v17, v13
	v_mul_lo_u32 v18, s4, v5
	v_add_u32_e32 v13, v13, v16
	v_mul_lo_u32 v17, v5, v13
	v_mul_hi_u32 v19, v5, v18
	v_mul_hi_u32 v16, v5, v13
	v_add_co_u32_e32 v17, vcc, v19, v17
	v_addc_co_u32_e32 v16, vcc, 0, v16, vcc
	v_mul_hi_u32 v20, v12, v18
	v_mul_lo_u32 v18, v12, v18
	v_add_co_u32_e32 v17, vcc, v17, v18
	v_mul_hi_u32 v19, v12, v13
	v_addc_co_u32_e32 v16, vcc, v16, v20, vcc
	v_addc_co_u32_e32 v17, vcc, 0, v19, vcc
	v_mul_lo_u32 v13, v12, v13
	v_add_co_u32_e32 v13, vcc, v16, v13
	v_addc_co_u32_e32 v16, vcc, 0, v17, vcc
	v_add_co_u32_e32 v5, vcc, v5, v13
	v_addc_co_u32_e32 v12, vcc, v12, v16, vcc
	v_mul_lo_u32 v13, s4, v12
	v_mul_hi_u32 v16, s4, v5
	v_add_u32_e32 v13, v16, v13
	v_mul_lo_u32 v16, s5, v5
	v_add_u32_e32 v13, v13, v16
	v_mul_lo_u32 v17, s4, v5
	v_mul_hi_u32 v18, v12, v17
	v_mul_lo_u32 v19, v12, v17
	v_mul_lo_u32 v21, v5, v13
	v_mul_hi_u32 v17, v5, v17
	v_mul_hi_u32 v20, v5, v13
	v_add_co_u32_e32 v17, vcc, v17, v21
	v_addc_co_u32_e32 v20, vcc, 0, v20, vcc
	v_add_co_u32_e32 v17, vcc, v17, v19
	v_mul_hi_u32 v16, v12, v13
	v_addc_co_u32_e32 v17, vcc, v20, v18, vcc
	v_addc_co_u32_e32 v16, vcc, 0, v16, vcc
	v_mul_lo_u32 v13, v12, v13
	v_add_co_u32_e32 v13, vcc, v17, v13
	v_addc_co_u32_e32 v16, vcc, 0, v16, vcc
	v_add_co_u32_e32 v5, vcc, v5, v13
	v_addc_co_u32_e32 v16, vcc, v12, v16, vcc
	v_ashrrev_i32_e32 v18, 31, v11
	v_add_co_u32_e32 v12, vcc, v10, v18
	v_addc_co_u32_e32 v13, vcc, v11, v18, vcc
	v_xor_b32_e32 v20, v12, v18
	v_xor_b32_e32 v19, v13, v18
	v_mad_u64_u32 v[12:13], s[4:5], v20, v16, 0
	v_mul_hi_u32 v17, v20, v5
	v_add_co_u32_e32 v21, vcc, v17, v12
	v_addc_co_u32_e32 v22, vcc, 0, v13, vcc
	v_mad_u64_u32 v[12:13], s[4:5], v19, v16, 0
	v_mad_u64_u32 v[16:17], s[4:5], v19, v5, 0
	v_add_co_u32_e32 v5, vcc, v21, v16
	v_addc_co_u32_e32 v5, vcc, v22, v17, vcc
	v_addc_co_u32_e32 v13, vcc, 0, v13, vcc
	v_add_co_u32_e32 v5, vcc, v5, v12
	v_addc_co_u32_e32 v16, vcc, 0, v13, vcc
	v_mul_lo_u32 v17, s41, v5
	v_mul_lo_u32 v21, s40, v16
	v_mad_u64_u32 v[12:13], s[4:5], s40, v5, 0
	v_add3_u32 v13, v13, v21, v17
	v_sub_u32_e32 v17, v19, v13
	v_mov_b32_e32 v21, s41
	v_sub_co_u32_e32 v12, vcc, v20, v12
	v_subb_co_u32_e64 v17, s[4:5], v17, v21, vcc
	v_subrev_co_u32_e64 v20, s[4:5], s40, v12
	v_subbrev_co_u32_e64 v17, s[4:5], 0, v17, s[4:5]
	v_cmp_le_u32_e64 s[4:5], s41, v17
	v_cndmask_b32_e64 v21, 0, -1, s[4:5]
	v_cmp_le_u32_e64 s[4:5], s40, v20
	v_cndmask_b32_e64 v20, 0, -1, s[4:5]
	v_cmp_eq_u32_e64 s[4:5], s41, v17
	v_cndmask_b32_e64 v17, v21, v20, s[4:5]
	v_add_co_u32_e64 v20, s[4:5], 2, v5
	v_subb_co_u32_e32 v13, vcc, v19, v13, vcc
	v_addc_co_u32_e64 v21, s[4:5], 0, v16, s[4:5]
	v_cmp_le_u32_e32 vcc, s41, v13
	v_add_co_u32_e64 v22, s[4:5], 1, v5
	v_cndmask_b32_e64 v19, 0, -1, vcc
	v_cmp_le_u32_e32 vcc, s40, v12
	v_addc_co_u32_e64 v23, s[4:5], 0, v16, s[4:5]
	v_cndmask_b32_e64 v12, 0, -1, vcc
	v_cmp_eq_u32_e32 vcc, s41, v13
	v_cmp_ne_u32_e64 s[4:5], 0, v17
	v_cndmask_b32_e32 v12, v19, v12, vcc
	v_cmp_ne_u32_e32 vcc, 0, v12
	v_cndmask_b32_e64 v13, v22, v20, s[4:5]
	v_cndmask_b32_e64 v17, v23, v21, s[4:5]
	v_cndmask_b32_e32 v5, v5, v13, vcc
	v_xor_b32_e32 v13, s38, v18
	v_cndmask_b32_e32 v12, v16, v17, vcc
	v_xor_b32_e32 v5, v5, v13
	v_xor_b32_e32 v16, v12, v13
	v_sub_co_u32_e32 v12, vcc, v5, v13
	v_subb_co_u32_e32 v13, vcc, v16, v13, vcc
.LBB18_13:                              ;   in Loop: Header=BB18_11 Depth=2
	s_andn2_saveexec_b64 s[4:5], s[36:37]
	s_cbranch_execz .LBB18_15
; %bb.14:                               ;   in Loop: Header=BB18_11 Depth=2
	v_cvt_f32_u32_e32 v5, s34
	s_sub_i32 s36, 0, s34
	v_rcp_iflag_f32_e32 v5, v5
	v_mul_f32_e32 v5, 0x4f7ffffe, v5
	v_cvt_u32_f32_e32 v5, v5
	v_mul_lo_u32 v12, s36, v5
	v_mul_hi_u32 v12, v5, v12
	v_add_u32_e32 v5, v5, v12
	v_mul_hi_u32 v5, v10, v5
	v_mul_lo_u32 v12, v5, s34
	v_sub_u32_e32 v12, v10, v12
	v_add_u32_e32 v13, 1, v5
	v_subrev_u32_e32 v16, s34, v12
	v_cmp_le_u32_e32 vcc, s34, v12
	v_cndmask_b32_e32 v12, v12, v16, vcc
	v_cndmask_b32_e32 v5, v5, v13, vcc
	v_add_u32_e32 v13, 1, v5
	v_cmp_le_u32_e32 vcc, s34, v12
	v_cndmask_b32_e32 v12, v5, v13, vcc
	v_mov_b32_e32 v13, v4
.LBB18_15:                              ;   in Loop: Header=BB18_11 Depth=2
	s_or_b64 exec, exec, s[4:5]
	v_mad_u64_u32 v[16:17], s[4:5], v12, s34, 0
	s_load_dwordx2 s[4:5], s[30:31], 0xc8
	v_mul_lo_u32 v5, v13, s34
	v_mul_lo_u32 v18, v12, s35
	v_add3_u32 v5, v17, v18, v5
	v_sub_co_u32_e32 v10, vcc, v10, v16
	s_add_i32 s44, s44, -1
	v_subb_co_u32_e32 v5, vcc, v11, v5, vcc
	s_add_u32 s30, s30, -8
	s_waitcnt lgkmcnt(0)
	v_mul_lo_u32 v5, s4, v5
	v_mul_lo_u32 v11, s5, v10
	v_mad_u64_u32 v[8:9], s[4:5], s4, v10, v[8:9]
	s_addc_u32 s31, s31, -1
	s_cmp_gt_u32 s44, 2
	v_add3_u32 v9, v11, v9, v5
	s_cbranch_scc0 .LBB18_17
; %bb.16:                               ;   in Loop: Header=BB18_11 Depth=2
	v_pk_mov_b32 v[10:11], v[12:13], v[12:13] op_sel:[0,1]
	s_branch .LBB18_11
.LBB18_17:                              ;   in Loop: Header=BB18_10 Depth=1
	v_pk_mov_b32 v[10:11], s[24:25], s[24:25] op_sel:[0,1]
	v_mad_u64_u32 v[10:11], s[4:5], s22, v12, v[10:11]
	v_mul_lo_u32 v5, s22, v13
	v_mul_lo_u32 v12, s23, v12
	v_add3_u32 v5, v12, v11, v5
	v_add_co_u32_e32 v8, vcc, v10, v8
	v_addc_co_u32_e32 v9, vcc, v5, v9, vcc
	global_load_sbyte v5, v[8:9], off
	s_waitcnt vmcnt(0)
	v_bfe_i32 v8, v5, 0, 16
	v_ashrrev_i32_e32 v9, 31, v8
	v_cmp_le_i64_e32 vcc, s[10:11], v[8:9]
	v_cmp_ge_i64_e64 s[4:5], s[12:13], v[8:9]
	s_and_b64 s[4:5], vcc, s[4:5]
	s_and_saveexec_b64 s[30:31], s[4:5]
	s_cbranch_execz .LBB18_9
; %bb.18:                               ;   in Loop: Header=BB18_10 Depth=1
	v_mov_b32_e32 v5, s11
	v_subrev_co_u32_e32 v8, vcc, s10, v8
	v_subb_co_u32_e32 v5, vcc, v9, v5, vcc
	v_mul_lo_u32 v5, v5, s8
	v_mul_lo_u32 v10, v8, s9
	v_mad_u64_u32 v[8:9], s[4:5], v8, s8, 0
	v_add3_u32 v9, v9, v10, v5
	v_or_b32_e32 v5, s42, v9
	v_cmp_ne_u64_e32 vcc, 0, v[4:5]
                                        ; implicit-def: $vgpr10_vgpr11
	s_and_saveexec_b64 s[4:5], vcc
	s_xor_b64 s[34:35], exec, s[4:5]
	s_cbranch_execz .LBB18_20
; %bb.19:                               ;   in Loop: Header=BB18_10 Depth=1
	s_ashr_i32 s36, s42, 31
	s_add_u32 s4, s33, s36
	s_mov_b32 s37, s36
	s_addc_u32 s5, s42, s36
	s_xor_b64 s[38:39], s[4:5], s[36:37]
	v_cvt_f32_u32_e32 v5, s38
	v_cvt_f32_u32_e32 v10, s39
	s_sub_u32 s4, 0, s38
	s_subb_u32 s5, 0, s39
	v_mac_f32_e32 v5, 0x4f800000, v10
	v_rcp_f32_e32 v5, v5
	v_mul_f32_e32 v5, 0x5f7ffffc, v5
	v_mul_f32_e32 v10, 0x2f800000, v5
	v_trunc_f32_e32 v10, v10
	v_mac_f32_e32 v5, 0xcf800000, v10
	v_cvt_u32_f32_e32 v10, v10
	v_cvt_u32_f32_e32 v5, v5
	v_mul_lo_u32 v11, s4, v10
	v_mul_hi_u32 v13, s4, v5
	v_mul_lo_u32 v12, s5, v5
	v_add_u32_e32 v11, v13, v11
	v_mul_lo_u32 v16, s4, v5
	v_add_u32_e32 v11, v11, v12
	v_mul_lo_u32 v13, v5, v11
	v_mul_hi_u32 v17, v5, v16
	v_mul_hi_u32 v12, v5, v11
	v_add_co_u32_e32 v13, vcc, v17, v13
	v_addc_co_u32_e32 v12, vcc, 0, v12, vcc
	v_mul_hi_u32 v18, v10, v16
	v_mul_lo_u32 v16, v10, v16
	v_add_co_u32_e32 v13, vcc, v13, v16
	v_mul_hi_u32 v17, v10, v11
	v_addc_co_u32_e32 v12, vcc, v12, v18, vcc
	v_addc_co_u32_e32 v13, vcc, 0, v17, vcc
	v_mul_lo_u32 v11, v10, v11
	v_add_co_u32_e32 v11, vcc, v12, v11
	v_addc_co_u32_e32 v12, vcc, 0, v13, vcc
	v_add_co_u32_e32 v5, vcc, v5, v11
	v_addc_co_u32_e32 v10, vcc, v10, v12, vcc
	v_mul_lo_u32 v11, s4, v10
	v_mul_hi_u32 v12, s4, v5
	v_add_u32_e32 v11, v12, v11
	v_mul_lo_u32 v12, s5, v5
	v_add_u32_e32 v11, v11, v12
	v_mul_lo_u32 v13, s4, v5
	v_mul_hi_u32 v16, v10, v13
	v_mul_lo_u32 v17, v10, v13
	v_mul_lo_u32 v19, v5, v11
	v_mul_hi_u32 v13, v5, v13
	v_mul_hi_u32 v18, v5, v11
	v_add_co_u32_e32 v13, vcc, v13, v19
	v_addc_co_u32_e32 v18, vcc, 0, v18, vcc
	v_add_co_u32_e32 v13, vcc, v13, v17
	v_mul_hi_u32 v12, v10, v11
	v_addc_co_u32_e32 v13, vcc, v18, v16, vcc
	v_addc_co_u32_e32 v12, vcc, 0, v12, vcc
	v_mul_lo_u32 v11, v10, v11
	v_add_co_u32_e32 v11, vcc, v13, v11
	v_addc_co_u32_e32 v12, vcc, 0, v12, vcc
	v_add_co_u32_e32 v5, vcc, v5, v11
	v_addc_co_u32_e32 v10, vcc, v10, v12, vcc
	v_ashrrev_i32_e32 v12, 31, v9
	v_add_co_u32_e32 v8, vcc, v8, v12
	v_addc_co_u32_e32 v9, vcc, v9, v12, vcc
	v_xor_b32_e32 v16, v8, v12
	v_xor_b32_e32 v13, v9, v12
	v_mad_u64_u32 v[8:9], s[4:5], v16, v10, 0
	v_mul_hi_u32 v11, v16, v5
	v_add_co_u32_e32 v17, vcc, v11, v8
	v_addc_co_u32_e32 v18, vcc, 0, v9, vcc
	v_mad_u64_u32 v[8:9], s[4:5], v13, v10, 0
	v_mad_u64_u32 v[10:11], s[4:5], v13, v5, 0
	v_add_co_u32_e32 v5, vcc, v17, v10
	v_addc_co_u32_e32 v5, vcc, v18, v11, vcc
	v_addc_co_u32_e32 v9, vcc, 0, v9, vcc
	v_add_co_u32_e32 v5, vcc, v5, v8
	v_addc_co_u32_e32 v8, vcc, 0, v9, vcc
	v_mul_lo_u32 v10, s39, v5
	v_mul_lo_u32 v11, s38, v8
	v_mad_u64_u32 v[8:9], s[4:5], s38, v5, 0
	v_add3_u32 v9, v9, v11, v10
	v_sub_u32_e32 v10, v13, v9
	v_mov_b32_e32 v11, s39
	v_sub_co_u32_e32 v8, vcc, v16, v8
	v_subb_co_u32_e64 v10, s[4:5], v10, v11, vcc
	v_subrev_co_u32_e64 v11, s[4:5], s38, v8
	v_subbrev_co_u32_e64 v10, s[4:5], 0, v10, s[4:5]
	v_cmp_le_u32_e64 s[4:5], s39, v10
	v_subb_co_u32_e32 v9, vcc, v13, v9, vcc
	v_cndmask_b32_e64 v16, 0, -1, s[4:5]
	v_cmp_le_u32_e64 s[4:5], s38, v11
	v_cmp_le_u32_e32 vcc, s39, v9
	v_cndmask_b32_e64 v11, 0, -1, s[4:5]
	v_cmp_eq_u32_e64 s[4:5], s39, v10
	v_cndmask_b32_e64 v13, 0, -1, vcc
	v_cmp_le_u32_e32 vcc, s38, v8
	v_cndmask_b32_e64 v10, v16, v11, s[4:5]
	v_cndmask_b32_e64 v8, 0, -1, vcc
	v_cmp_eq_u32_e32 vcc, s39, v9
	v_add_co_u32_e64 v11, s[4:5], 2, v5
	v_add_co_u32_e64 v16, s[4:5], 1, v5
	v_cndmask_b32_e32 v8, v13, v8, vcc
	v_cmp_ne_u32_e32 vcc, 0, v10
	v_cndmask_b32_e32 v9, v16, v11, vcc
	v_cmp_ne_u32_e32 vcc, 0, v8
	v_cndmask_b32_e32 v5, v5, v9, vcc
	v_xor_b32_e32 v8, s36, v12
	v_xor_b32_e32 v5, v5, v8
	v_sub_co_u32_e32 v10, vcc, v5, v8
                                        ; implicit-def: $vgpr8_vgpr9
.LBB18_20:                              ;   in Loop: Header=BB18_10 Depth=1
	s_andn2_saveexec_b64 s[4:5], s[34:35]
	s_cbranch_execz .LBB18_8
; %bb.21:                               ;   in Loop: Header=BB18_10 Depth=1
	v_cvt_f32_u32_e32 v5, s33
	s_sub_i32 s34, 0, s33
	v_rcp_iflag_f32_e32 v5, v5
	v_mul_f32_e32 v5, 0x4f7ffffe, v5
	v_cvt_u32_f32_e32 v5, v5
	v_mul_lo_u32 v9, s34, v5
	v_mul_hi_u32 v9, v5, v9
	v_add_u32_e32 v5, v5, v9
	v_mul_hi_u32 v5, v8, v5
	v_mul_lo_u32 v9, v5, s33
	v_sub_u32_e32 v8, v8, v9
	v_add_u32_e32 v10, 1, v5
	v_subrev_u32_e32 v9, s33, v8
	v_cmp_le_u32_e32 vcc, s33, v8
	v_cndmask_b32_e32 v8, v8, v9, vcc
	v_cndmask_b32_e32 v5, v5, v10, vcc
	v_add_u32_e32 v9, 1, v5
	v_cmp_le_u32_e32 vcc, s33, v8
	v_cndmask_b32_e32 v10, v5, v9, vcc
	s_branch .LBB18_8
.LBB18_22:
	s_or_b64 exec, exec, s[6:7]
; %bb.23:
	s_waitcnt lgkmcnt(0)
	s_barrier
	s_and_saveexec_b64 s[2:3], s[0:1]
	s_cbranch_execz .LBB18_26
; %bb.24:
	v_mad_u64_u32 v[4:5], s[0:1], s20, v0, 0
	v_mov_b32_e32 v6, v5
	v_and_b32_e32 v2, 0xffff, v7
	v_mad_u64_u32 v[6:7], s[0:1], s21, v0, v[6:7]
	v_mov_b32_e32 v5, v6
	v_mad_u64_u32 v[6:7], s[0:1], s20, v2, 0
	v_mov_b32_e32 v8, v7
	v_lshlrev_b64 v[4:5], 3, v[4:5]
	v_mad_u64_u32 v[8:9], s[0:1], s21, v2, v[8:9]
	v_mov_b32_e32 v3, s17
	v_add_co_u32_e32 v4, vcc, s16, v4
	v_mov_b32_e32 v7, v8
	v_addc_co_u32_e32 v5, vcc, v3, v5, vcc
	v_lshlrev_b64 v[6:7], 3, v[6:7]
	v_lshlrev_b32_e32 v3, 3, v15
	s_mov_b64 s[0:1], 0
.LBB18_25:                              ; =>This Inner Loop Header: Depth=1
	ds_read_b64 v[8:9], v14
	v_add_co_u32_e32 v0, vcc, v0, v2
	v_addc_co_u32_e32 v1, vcc, 0, v1, vcc
	s_waitcnt lgkmcnt(0)
	global_atomic_add_x2 v[4:5], v[8:9], off
	v_cmp_le_i64_e32 vcc, s[18:19], v[0:1]
	s_or_b64 s[0:1], vcc, s[0:1]
	v_add_co_u32_e32 v4, vcc, v4, v6
	v_add_u32_e32 v14, v14, v3
	v_addc_co_u32_e32 v5, vcc, v5, v7, vcc
	s_andn2_b64 exec, exec, s[0:1]
	s_cbranch_execnz .LBB18_25
.LBB18_26:
	s_endpgm
	.section	.rodata,"a",@progbits
	.p2align	6, 0x0
	.amdhsa_kernel _ZN2at4cuda17kernelHistogram1DIlalLi1ELi2ELin1ELNS0_23CUDAHistogramMemoryTypeE0EZNS0_21CUDA_tensor_histogramIlaLb0EEEbNS_6TensorES4_S4_lNS_14AccumulateTypeIT0_Lb1EE4typeES8_NS0_13TensorArgTypeES9_S9_EUllE0_EEvNS0_6detail10TensorInfoIT_T1_EESF_NSC_IKS6_SE_EElS8_S8_SE_T6_
		.amdhsa_group_segment_fixed_size 0
		.amdhsa_private_segment_fixed_size 0
		.amdhsa_kernarg_size 1544
		.amdhsa_user_sgpr_count 6
		.amdhsa_user_sgpr_private_segment_buffer 1
		.amdhsa_user_sgpr_dispatch_ptr 0
		.amdhsa_user_sgpr_queue_ptr 0
		.amdhsa_user_sgpr_kernarg_segment_ptr 1
		.amdhsa_user_sgpr_dispatch_id 0
		.amdhsa_user_sgpr_flat_scratch_init 0
		.amdhsa_user_sgpr_kernarg_preload_length 0
		.amdhsa_user_sgpr_kernarg_preload_offset 0
		.amdhsa_user_sgpr_private_segment_size 0
		.amdhsa_uses_dynamic_stack 0
		.amdhsa_system_sgpr_private_segment_wavefront_offset 0
		.amdhsa_system_sgpr_workgroup_id_x 1
		.amdhsa_system_sgpr_workgroup_id_y 0
		.amdhsa_system_sgpr_workgroup_id_z 0
		.amdhsa_system_sgpr_workgroup_info 0
		.amdhsa_system_vgpr_workitem_id 0
		.amdhsa_next_free_vgpr 24
		.amdhsa_next_free_sgpr 45
		.amdhsa_accum_offset 24
		.amdhsa_reserve_vcc 1
		.amdhsa_reserve_flat_scratch 0
		.amdhsa_float_round_mode_32 0
		.amdhsa_float_round_mode_16_64 0
		.amdhsa_float_denorm_mode_32 3
		.amdhsa_float_denorm_mode_16_64 3
		.amdhsa_dx10_clamp 1
		.amdhsa_ieee_mode 1
		.amdhsa_fp16_overflow 0
		.amdhsa_tg_split 0
		.amdhsa_exception_fp_ieee_invalid_op 0
		.amdhsa_exception_fp_denorm_src 0
		.amdhsa_exception_fp_ieee_div_zero 0
		.amdhsa_exception_fp_ieee_overflow 0
		.amdhsa_exception_fp_ieee_underflow 0
		.amdhsa_exception_fp_ieee_inexact 0
		.amdhsa_exception_int_div_zero 0
	.end_amdhsa_kernel
	.section	.text._ZN2at4cuda17kernelHistogram1DIlalLi1ELi2ELin1ELNS0_23CUDAHistogramMemoryTypeE0EZNS0_21CUDA_tensor_histogramIlaLb0EEEbNS_6TensorES4_S4_lNS_14AccumulateTypeIT0_Lb1EE4typeES8_NS0_13TensorArgTypeES9_S9_EUllE0_EEvNS0_6detail10TensorInfoIT_T1_EESF_NSC_IKS6_SE_EElS8_S8_SE_T6_,"axG",@progbits,_ZN2at4cuda17kernelHistogram1DIlalLi1ELi2ELin1ELNS0_23CUDAHistogramMemoryTypeE0EZNS0_21CUDA_tensor_histogramIlaLb0EEEbNS_6TensorES4_S4_lNS_14AccumulateTypeIT0_Lb1EE4typeES8_NS0_13TensorArgTypeES9_S9_EUllE0_EEvNS0_6detail10TensorInfoIT_T1_EESF_NSC_IKS6_SE_EElS8_S8_SE_T6_,comdat
.Lfunc_end18:
	.size	_ZN2at4cuda17kernelHistogram1DIlalLi1ELi2ELin1ELNS0_23CUDAHistogramMemoryTypeE0EZNS0_21CUDA_tensor_histogramIlaLb0EEEbNS_6TensorES4_S4_lNS_14AccumulateTypeIT0_Lb1EE4typeES8_NS0_13TensorArgTypeES9_S9_EUllE0_EEvNS0_6detail10TensorInfoIT_T1_EESF_NSC_IKS6_SE_EElS8_S8_SE_T6_, .Lfunc_end18-_ZN2at4cuda17kernelHistogram1DIlalLi1ELi2ELin1ELNS0_23CUDAHistogramMemoryTypeE0EZNS0_21CUDA_tensor_histogramIlaLb0EEEbNS_6TensorES4_S4_lNS_14AccumulateTypeIT0_Lb1EE4typeES8_NS0_13TensorArgTypeES9_S9_EUllE0_EEvNS0_6detail10TensorInfoIT_T1_EESF_NSC_IKS6_SE_EElS8_S8_SE_T6_
                                        ; -- End function
	.section	.AMDGPU.csdata,"",@progbits
; Kernel info:
; codeLenInByte = 2496
; NumSgprs: 49
; NumVgprs: 24
; NumAgprs: 0
; TotalNumVgprs: 24
; ScratchSize: 0
; MemoryBound: 0
; FloatMode: 240
; IeeeMode: 1
; LDSByteSize: 0 bytes/workgroup (compile time only)
; SGPRBlocks: 6
; VGPRBlocks: 2
; NumSGPRsForWavesPerEU: 49
; NumVGPRsForWavesPerEU: 24
; AccumOffset: 24
; Occupancy: 8
; WaveLimiterHint : 1
; COMPUTE_PGM_RSRC2:SCRATCH_EN: 0
; COMPUTE_PGM_RSRC2:USER_SGPR: 6
; COMPUTE_PGM_RSRC2:TRAP_HANDLER: 0
; COMPUTE_PGM_RSRC2:TGID_X_EN: 1
; COMPUTE_PGM_RSRC2:TGID_Y_EN: 0
; COMPUTE_PGM_RSRC2:TGID_Z_EN: 0
; COMPUTE_PGM_RSRC2:TIDIG_COMP_CNT: 0
; COMPUTE_PGM_RSRC3_GFX90A:ACCUM_OFFSET: 5
; COMPUTE_PGM_RSRC3_GFX90A:TG_SPLIT: 0
	.section	.text._ZN2at4cuda17kernelHistogram1DIlalLi1ELi2ELin1ELNS0_23CUDAHistogramMemoryTypeE1EZNS0_21CUDA_tensor_histogramIlaLb0EEEbNS_6TensorES4_S4_lNS_14AccumulateTypeIT0_Lb1EE4typeES8_NS0_13TensorArgTypeES9_S9_EUllE0_EEvNS0_6detail10TensorInfoIT_T1_EESF_NSC_IKS6_SE_EElS8_S8_SE_T6_,"axG",@progbits,_ZN2at4cuda17kernelHistogram1DIlalLi1ELi2ELin1ELNS0_23CUDAHistogramMemoryTypeE1EZNS0_21CUDA_tensor_histogramIlaLb0EEEbNS_6TensorES4_S4_lNS_14AccumulateTypeIT0_Lb1EE4typeES8_NS0_13TensorArgTypeES9_S9_EUllE0_EEvNS0_6detail10TensorInfoIT_T1_EESF_NSC_IKS6_SE_EElS8_S8_SE_T6_,comdat
	.protected	_ZN2at4cuda17kernelHistogram1DIlalLi1ELi2ELin1ELNS0_23CUDAHistogramMemoryTypeE1EZNS0_21CUDA_tensor_histogramIlaLb0EEEbNS_6TensorES4_S4_lNS_14AccumulateTypeIT0_Lb1EE4typeES8_NS0_13TensorArgTypeES9_S9_EUllE0_EEvNS0_6detail10TensorInfoIT_T1_EESF_NSC_IKS6_SE_EElS8_S8_SE_T6_ ; -- Begin function _ZN2at4cuda17kernelHistogram1DIlalLi1ELi2ELin1ELNS0_23CUDAHistogramMemoryTypeE1EZNS0_21CUDA_tensor_histogramIlaLb0EEEbNS_6TensorES4_S4_lNS_14AccumulateTypeIT0_Lb1EE4typeES8_NS0_13TensorArgTypeES9_S9_EUllE0_EEvNS0_6detail10TensorInfoIT_T1_EESF_NSC_IKS6_SE_EElS8_S8_SE_T6_
	.globl	_ZN2at4cuda17kernelHistogram1DIlalLi1ELi2ELin1ELNS0_23CUDAHistogramMemoryTypeE1EZNS0_21CUDA_tensor_histogramIlaLb0EEEbNS_6TensorES4_S4_lNS_14AccumulateTypeIT0_Lb1EE4typeES8_NS0_13TensorArgTypeES9_S9_EUllE0_EEvNS0_6detail10TensorInfoIT_T1_EESF_NSC_IKS6_SE_EElS8_S8_SE_T6_
	.p2align	8
	.type	_ZN2at4cuda17kernelHistogram1DIlalLi1ELi2ELin1ELNS0_23CUDAHistogramMemoryTypeE1EZNS0_21CUDA_tensor_histogramIlaLb0EEEbNS_6TensorES4_S4_lNS_14AccumulateTypeIT0_Lb1EE4typeES8_NS0_13TensorArgTypeES9_S9_EUllE0_EEvNS0_6detail10TensorInfoIT_T1_EESF_NSC_IKS6_SE_EElS8_S8_SE_T6_,@function
_ZN2at4cuda17kernelHistogram1DIlalLi1ELi2ELin1ELNS0_23CUDAHistogramMemoryTypeE1EZNS0_21CUDA_tensor_histogramIlaLb0EEEbNS_6TensorES4_S4_lNS_14AccumulateTypeIT0_Lb1EE4typeES8_NS0_13TensorArgTypeES9_S9_EUllE0_EEvNS0_6detail10TensorInfoIT_T1_EESF_NSC_IKS6_SE_EElS8_S8_SE_T6_: ; @_ZN2at4cuda17kernelHistogram1DIlalLi1ELi2ELin1ELNS0_23CUDAHistogramMemoryTypeE1EZNS0_21CUDA_tensor_histogramIlaLb0EEEbNS_6TensorES4_S4_lNS_14AccumulateTypeIT0_Lb1EE4typeES8_NS0_13TensorArgTypeES9_S9_EUllE0_EEvNS0_6detail10TensorInfoIT_T1_EESF_NSC_IKS6_SE_EElS8_S8_SE_T6_
; %bb.0:
	s_load_dword s2, s[4:5], 0x514
	s_load_dwordx8 s[8:15], s[4:5], 0x4e0
	s_add_u32 s0, s4, 0x508
	s_addc_u32 s1, s5, 0
	v_mov_b32_e32 v2, 0
	s_waitcnt lgkmcnt(0)
	s_and_b32 s2, s2, 0xffff
	s_mul_i32 s6, s6, s2
	v_add_u32_e32 v0, s6, v0
	v_mov_b32_e32 v1, v2
	v_cmp_gt_i64_e32 vcc, s[14:15], v[0:1]
	s_and_saveexec_b64 s[6:7], vcc
	s_cbranch_execz .LBB19_16
; %bb.1:
	s_load_dword s3, s[4:5], 0x4d8
	s_load_dwordx2 s[6:7], s[4:5], 0x0
	s_load_dwordx2 s[16:17], s[4:5], 0xd0
	s_load_dword s24, s[0:1], 0x0
	s_add_u32 s22, s4, 0x340
	s_addc_u32 s23, s5, 0
	s_mov_b32 s38, 0
	s_waitcnt lgkmcnt(0)
	s_cmp_gt_i32 s3, 1
	s_cselect_b64 s[0:1], -1, 0
	s_sub_u32 s33, s12, s10
	s_subb_u32 s36, s13, s11
	s_mul_i32 s37, s24, s2
	s_add_i32 s39, s3, 1
	s_add_i32 s2, s3, -1
	s_mov_b32 s3, s38
	s_load_dwordx2 s[18:19], s[4:5], 0x410
	s_load_dwordx2 s[20:21], s[4:5], 0x340
	s_lshl_b64 s[2:3], s[2:3], 3
	s_add_u32 s2, s2, s22
	s_addc_u32 s3, s3, s23
	s_add_u32 s4, s2, 8
	v_cndmask_b32_e64 v3, 0, 1, s[0:1]
	s_addc_u32 s5, s3, 0
	s_mov_b64 s[22:23], 0
	v_cmp_ne_u32_e64 s[0:1], 1, v3
	s_branch .LBB19_4
.LBB19_2:                               ;   in Loop: Header=BB19_4 Depth=1
	s_or_b64 exec, exec, s[2:3]
	v_ashrrev_i32_e32 v7, 31, v6
	v_cmp_eq_u64_e32 vcc, s[8:9], v[6:7]
	v_cndmask_b32_e64 v3, 0, 1, vcc
	v_sub_co_u32_e32 v3, vcc, v6, v3
	v_subbrev_co_u32_e32 v4, vcc, 0, v7, vcc
	v_mul_lo_u32 v6, v4, s16
	v_mul_lo_u32 v7, v3, s17
	v_mad_u64_u32 v[4:5], s[2:3], v3, s16, 0
	v_add3_u32 v5, v5, v7, v6
	v_lshlrev_b64 v[4:5], 3, v[4:5]
	v_mov_b32_e32 v3, s7
	v_add_co_u32_e32 v4, vcc, s6, v4
	v_mov_b32_e32 v6, 1
	v_addc_co_u32_e32 v5, vcc, v3, v5, vcc
	v_mov_b32_e32 v7, 0
	global_atomic_add_x2 v[4:5], v[6:7], off
.LBB19_3:                               ;   in Loop: Header=BB19_4 Depth=1
	s_or_b64 exec, exec, s[24:25]
	v_mov_b32_e32 v3, s38
	v_add_co_u32_e32 v0, vcc, s37, v0
	v_addc_co_u32_e32 v1, vcc, v1, v3, vcc
	v_cmp_le_i64_e32 vcc, s[14:15], v[0:1]
	s_or_b64 s[22:23], vcc, s[22:23]
	s_andn2_b64 exec, exec, s[22:23]
	s_cbranch_execz .LBB19_16
.LBB19_4:                               ; =>This Loop Header: Depth=1
                                        ;     Child Loop BB19_5 Depth 2
	s_and_b64 vcc, exec, s[0:1]
	v_pk_mov_b32 v[4:5], 0, 0
	s_mov_b64 s[24:25], s[4:5]
	s_mov_b32 s40, s39
	v_pk_mov_b32 v[6:7], v[0:1], v[0:1] op_sel:[0,1]
	v_pk_mov_b32 v[8:9], v[0:1], v[0:1] op_sel:[0,1]
	s_cbranch_vccnz .LBB19_11
.LBB19_5:                               ;   Parent Loop BB19_4 Depth=1
                                        ; =>  This Inner Loop Header: Depth=2
	s_load_dwordx2 s[26:27], s[24:25], 0x0
                                        ; implicit-def: $vgpr8_vgpr9
	s_waitcnt lgkmcnt(0)
	v_or_b32_e32 v3, s27, v7
	v_cmp_ne_u64_e32 vcc, 0, v[2:3]
	s_and_saveexec_b64 s[2:3], vcc
	s_xor_b64 s[28:29], exec, s[2:3]
	s_cbranch_execz .LBB19_7
; %bb.6:                                ;   in Loop: Header=BB19_5 Depth=2
	s_ashr_i32 s30, s27, 31
	s_add_u32 s2, s26, s30
	s_mov_b32 s31, s30
	s_addc_u32 s3, s27, s30
	s_xor_b64 s[34:35], s[2:3], s[30:31]
	v_cvt_f32_u32_e32 v3, s34
	v_cvt_f32_u32_e32 v8, s35
	s_sub_u32 s2, 0, s34
	s_subb_u32 s3, 0, s35
	v_mac_f32_e32 v3, 0x4f800000, v8
	v_rcp_f32_e32 v3, v3
	v_mul_f32_e32 v3, 0x5f7ffffc, v3
	v_mul_f32_e32 v8, 0x2f800000, v3
	v_trunc_f32_e32 v8, v8
	v_mac_f32_e32 v3, 0xcf800000, v8
	v_cvt_u32_f32_e32 v8, v8
	v_cvt_u32_f32_e32 v3, v3
	v_mul_lo_u32 v9, s2, v8
	v_mul_hi_u32 v11, s2, v3
	v_mul_lo_u32 v10, s3, v3
	v_add_u32_e32 v9, v11, v9
	v_mul_lo_u32 v12, s2, v3
	v_add_u32_e32 v9, v9, v10
	v_mul_lo_u32 v11, v3, v9
	v_mul_hi_u32 v13, v3, v12
	v_mul_hi_u32 v10, v3, v9
	v_add_co_u32_e32 v11, vcc, v13, v11
	v_addc_co_u32_e32 v10, vcc, 0, v10, vcc
	v_mul_hi_u32 v14, v8, v12
	v_mul_lo_u32 v12, v8, v12
	v_add_co_u32_e32 v11, vcc, v11, v12
	v_mul_hi_u32 v13, v8, v9
	v_addc_co_u32_e32 v10, vcc, v10, v14, vcc
	v_addc_co_u32_e32 v11, vcc, 0, v13, vcc
	v_mul_lo_u32 v9, v8, v9
	v_add_co_u32_e32 v9, vcc, v10, v9
	v_addc_co_u32_e32 v10, vcc, 0, v11, vcc
	v_add_co_u32_e32 v3, vcc, v3, v9
	v_addc_co_u32_e32 v8, vcc, v8, v10, vcc
	v_mul_lo_u32 v9, s2, v8
	v_mul_hi_u32 v10, s2, v3
	v_add_u32_e32 v9, v10, v9
	v_mul_lo_u32 v10, s3, v3
	v_add_u32_e32 v9, v9, v10
	v_mul_lo_u32 v11, s2, v3
	v_mul_hi_u32 v12, v8, v11
	v_mul_lo_u32 v13, v8, v11
	v_mul_lo_u32 v15, v3, v9
	v_mul_hi_u32 v11, v3, v11
	v_mul_hi_u32 v14, v3, v9
	v_add_co_u32_e32 v11, vcc, v11, v15
	v_addc_co_u32_e32 v14, vcc, 0, v14, vcc
	v_add_co_u32_e32 v11, vcc, v11, v13
	v_mul_hi_u32 v10, v8, v9
	v_addc_co_u32_e32 v11, vcc, v14, v12, vcc
	v_addc_co_u32_e32 v10, vcc, 0, v10, vcc
	v_mul_lo_u32 v9, v8, v9
	v_add_co_u32_e32 v9, vcc, v11, v9
	v_addc_co_u32_e32 v10, vcc, 0, v10, vcc
	v_add_co_u32_e32 v3, vcc, v3, v9
	v_addc_co_u32_e32 v10, vcc, v8, v10, vcc
	v_ashrrev_i32_e32 v12, 31, v7
	v_add_co_u32_e32 v8, vcc, v6, v12
	v_addc_co_u32_e32 v9, vcc, v7, v12, vcc
	v_xor_b32_e32 v14, v8, v12
	v_xor_b32_e32 v13, v9, v12
	v_mad_u64_u32 v[8:9], s[2:3], v14, v10, 0
	v_mul_hi_u32 v11, v14, v3
	v_add_co_u32_e32 v15, vcc, v11, v8
	v_addc_co_u32_e32 v16, vcc, 0, v9, vcc
	v_mad_u64_u32 v[8:9], s[2:3], v13, v10, 0
	v_mad_u64_u32 v[10:11], s[2:3], v13, v3, 0
	v_add_co_u32_e32 v3, vcc, v15, v10
	v_addc_co_u32_e32 v3, vcc, v16, v11, vcc
	v_addc_co_u32_e32 v9, vcc, 0, v9, vcc
	v_add_co_u32_e32 v3, vcc, v3, v8
	v_addc_co_u32_e32 v10, vcc, 0, v9, vcc
	v_mul_lo_u32 v11, s35, v3
	v_mul_lo_u32 v15, s34, v10
	v_mad_u64_u32 v[8:9], s[2:3], s34, v3, 0
	v_add3_u32 v9, v9, v15, v11
	v_sub_u32_e32 v11, v13, v9
	v_mov_b32_e32 v15, s35
	v_sub_co_u32_e32 v8, vcc, v14, v8
	v_subb_co_u32_e64 v11, s[2:3], v11, v15, vcc
	v_subrev_co_u32_e64 v14, s[2:3], s34, v8
	v_subbrev_co_u32_e64 v11, s[2:3], 0, v11, s[2:3]
	v_cmp_le_u32_e64 s[2:3], s35, v11
	v_cndmask_b32_e64 v15, 0, -1, s[2:3]
	v_cmp_le_u32_e64 s[2:3], s34, v14
	v_cndmask_b32_e64 v14, 0, -1, s[2:3]
	v_cmp_eq_u32_e64 s[2:3], s35, v11
	v_cndmask_b32_e64 v11, v15, v14, s[2:3]
	v_add_co_u32_e64 v14, s[2:3], 2, v3
	v_subb_co_u32_e32 v9, vcc, v13, v9, vcc
	v_addc_co_u32_e64 v15, s[2:3], 0, v10, s[2:3]
	v_cmp_le_u32_e32 vcc, s35, v9
	v_add_co_u32_e64 v16, s[2:3], 1, v3
	v_cndmask_b32_e64 v13, 0, -1, vcc
	v_cmp_le_u32_e32 vcc, s34, v8
	v_addc_co_u32_e64 v17, s[2:3], 0, v10, s[2:3]
	v_cndmask_b32_e64 v8, 0, -1, vcc
	v_cmp_eq_u32_e32 vcc, s35, v9
	v_cmp_ne_u32_e64 s[2:3], 0, v11
	v_cndmask_b32_e32 v8, v13, v8, vcc
	v_cmp_ne_u32_e32 vcc, 0, v8
	v_cndmask_b32_e64 v9, v16, v14, s[2:3]
	v_cndmask_b32_e64 v11, v17, v15, s[2:3]
	v_cndmask_b32_e32 v3, v3, v9, vcc
	v_xor_b32_e32 v9, s30, v12
	v_cndmask_b32_e32 v8, v10, v11, vcc
	v_xor_b32_e32 v3, v3, v9
	v_xor_b32_e32 v10, v8, v9
	v_sub_co_u32_e32 v8, vcc, v3, v9
	v_subb_co_u32_e32 v9, vcc, v10, v9, vcc
.LBB19_7:                               ;   in Loop: Header=BB19_5 Depth=2
	s_andn2_saveexec_b64 s[2:3], s[28:29]
	s_cbranch_execz .LBB19_9
; %bb.8:                                ;   in Loop: Header=BB19_5 Depth=2
	v_cvt_f32_u32_e32 v3, s26
	s_sub_i32 s28, 0, s26
	v_rcp_iflag_f32_e32 v3, v3
	v_mul_f32_e32 v3, 0x4f7ffffe, v3
	v_cvt_u32_f32_e32 v3, v3
	v_mul_lo_u32 v8, s28, v3
	v_mul_hi_u32 v8, v3, v8
	v_add_u32_e32 v3, v3, v8
	v_mul_hi_u32 v3, v6, v3
	v_mul_lo_u32 v8, v3, s26
	v_sub_u32_e32 v8, v6, v8
	v_add_u32_e32 v9, 1, v3
	v_subrev_u32_e32 v10, s26, v8
	v_cmp_le_u32_e32 vcc, s26, v8
	v_cndmask_b32_e32 v8, v8, v10, vcc
	v_cndmask_b32_e32 v3, v3, v9, vcc
	v_add_u32_e32 v9, 1, v3
	v_cmp_le_u32_e32 vcc, s26, v8
	v_cndmask_b32_e32 v8, v3, v9, vcc
	v_mov_b32_e32 v9, v2
.LBB19_9:                               ;   in Loop: Header=BB19_5 Depth=2
	s_or_b64 exec, exec, s[2:3]
	v_mad_u64_u32 v[10:11], s[2:3], v8, s26, 0
	s_load_dwordx2 s[2:3], s[24:25], 0xc8
	v_mul_lo_u32 v3, v9, s26
	v_mul_lo_u32 v12, v8, s27
	v_add3_u32 v3, v11, v12, v3
	v_sub_co_u32_e32 v6, vcc, v6, v10
	s_add_i32 s40, s40, -1
	v_subb_co_u32_e32 v3, vcc, v7, v3, vcc
	s_add_u32 s24, s24, -8
	s_waitcnt lgkmcnt(0)
	v_mul_lo_u32 v3, s2, v3
	v_mul_lo_u32 v7, s3, v6
	v_mad_u64_u32 v[4:5], s[2:3], s2, v6, v[4:5]
	s_addc_u32 s25, s25, -1
	s_cmp_gt_u32 s40, 2
	v_add3_u32 v5, v7, v5, v3
	s_cbranch_scc0 .LBB19_11
; %bb.10:                               ;   in Loop: Header=BB19_5 Depth=2
	v_pk_mov_b32 v[6:7], v[8:9], v[8:9] op_sel:[0,1]
	s_branch .LBB19_5
.LBB19_11:                              ;   in Loop: Header=BB19_4 Depth=1
	s_waitcnt lgkmcnt(0)
	v_pk_mov_b32 v[6:7], s[20:21], s[20:21] op_sel:[0,1]
	v_mad_u64_u32 v[6:7], s[2:3], s18, v8, v[6:7]
	v_mul_lo_u32 v3, s18, v9
	v_mul_lo_u32 v8, s19, v8
	v_add3_u32 v3, v8, v7, v3
	v_add_co_u32_e32 v4, vcc, v6, v4
	v_addc_co_u32_e32 v5, vcc, v3, v5, vcc
	global_load_sbyte v3, v[4:5], off
	s_waitcnt vmcnt(0)
	v_bfe_i32 v4, v3, 0, 16
	v_ashrrev_i32_e32 v5, 31, v4
	v_cmp_le_i64_e32 vcc, s[10:11], v[4:5]
	v_cmp_ge_i64_e64 s[2:3], s[12:13], v[4:5]
	s_and_b64 s[2:3], vcc, s[2:3]
	s_and_saveexec_b64 s[24:25], s[2:3]
	s_cbranch_execz .LBB19_3
; %bb.12:                               ;   in Loop: Header=BB19_4 Depth=1
	v_mov_b32_e32 v3, s11
	v_subrev_co_u32_e32 v4, vcc, s10, v4
	v_subb_co_u32_e32 v3, vcc, v5, v3, vcc
	v_mul_lo_u32 v3, v3, s8
	v_mul_lo_u32 v6, v4, s9
	v_mad_u64_u32 v[4:5], s[2:3], v4, s8, 0
	v_add3_u32 v5, v5, v6, v3
	v_or_b32_e32 v3, s36, v5
	v_cmp_ne_u64_e32 vcc, 0, v[2:3]
                                        ; implicit-def: $vgpr6_vgpr7
	s_and_saveexec_b64 s[2:3], vcc
	s_xor_b64 s[26:27], exec, s[2:3]
	s_cbranch_execz .LBB19_14
; %bb.13:                               ;   in Loop: Header=BB19_4 Depth=1
	s_ashr_i32 s28, s36, 31
	s_add_u32 s2, s33, s28
	s_mov_b32 s29, s28
	s_addc_u32 s3, s36, s28
	s_xor_b64 s[30:31], s[2:3], s[28:29]
	v_cvt_f32_u32_e32 v3, s30
	v_cvt_f32_u32_e32 v6, s31
	s_sub_u32 s2, 0, s30
	s_subb_u32 s3, 0, s31
	v_mac_f32_e32 v3, 0x4f800000, v6
	v_rcp_f32_e32 v3, v3
	v_mul_f32_e32 v3, 0x5f7ffffc, v3
	v_mul_f32_e32 v6, 0x2f800000, v3
	v_trunc_f32_e32 v6, v6
	v_mac_f32_e32 v3, 0xcf800000, v6
	v_cvt_u32_f32_e32 v6, v6
	v_cvt_u32_f32_e32 v3, v3
	v_mul_lo_u32 v7, s2, v6
	v_mul_hi_u32 v9, s2, v3
	v_mul_lo_u32 v8, s3, v3
	v_add_u32_e32 v7, v9, v7
	v_mul_lo_u32 v10, s2, v3
	v_add_u32_e32 v7, v7, v8
	v_mul_lo_u32 v9, v3, v7
	v_mul_hi_u32 v11, v3, v10
	v_mul_hi_u32 v8, v3, v7
	v_add_co_u32_e32 v9, vcc, v11, v9
	v_addc_co_u32_e32 v8, vcc, 0, v8, vcc
	v_mul_hi_u32 v12, v6, v10
	v_mul_lo_u32 v10, v6, v10
	v_add_co_u32_e32 v9, vcc, v9, v10
	v_mul_hi_u32 v11, v6, v7
	v_addc_co_u32_e32 v8, vcc, v8, v12, vcc
	v_addc_co_u32_e32 v9, vcc, 0, v11, vcc
	v_mul_lo_u32 v7, v6, v7
	v_add_co_u32_e32 v7, vcc, v8, v7
	v_addc_co_u32_e32 v8, vcc, 0, v9, vcc
	v_add_co_u32_e32 v3, vcc, v3, v7
	v_addc_co_u32_e32 v6, vcc, v6, v8, vcc
	v_mul_lo_u32 v7, s2, v6
	v_mul_hi_u32 v8, s2, v3
	v_add_u32_e32 v7, v8, v7
	v_mul_lo_u32 v8, s3, v3
	v_add_u32_e32 v7, v7, v8
	v_mul_lo_u32 v9, s2, v3
	v_mul_hi_u32 v10, v6, v9
	v_mul_lo_u32 v11, v6, v9
	v_mul_lo_u32 v13, v3, v7
	v_mul_hi_u32 v9, v3, v9
	v_mul_hi_u32 v12, v3, v7
	v_add_co_u32_e32 v9, vcc, v9, v13
	v_addc_co_u32_e32 v12, vcc, 0, v12, vcc
	v_add_co_u32_e32 v9, vcc, v9, v11
	v_mul_hi_u32 v8, v6, v7
	v_addc_co_u32_e32 v9, vcc, v12, v10, vcc
	v_addc_co_u32_e32 v8, vcc, 0, v8, vcc
	v_mul_lo_u32 v7, v6, v7
	v_add_co_u32_e32 v7, vcc, v9, v7
	v_addc_co_u32_e32 v8, vcc, 0, v8, vcc
	v_add_co_u32_e32 v3, vcc, v3, v7
	v_addc_co_u32_e32 v6, vcc, v6, v8, vcc
	v_ashrrev_i32_e32 v8, 31, v5
	v_add_co_u32_e32 v4, vcc, v4, v8
	v_addc_co_u32_e32 v5, vcc, v5, v8, vcc
	v_xor_b32_e32 v10, v4, v8
	v_xor_b32_e32 v9, v5, v8
	v_mad_u64_u32 v[4:5], s[2:3], v10, v6, 0
	v_mul_hi_u32 v7, v10, v3
	v_add_co_u32_e32 v11, vcc, v7, v4
	v_addc_co_u32_e32 v12, vcc, 0, v5, vcc
	v_mad_u64_u32 v[4:5], s[2:3], v9, v6, 0
	v_mad_u64_u32 v[6:7], s[2:3], v9, v3, 0
	v_add_co_u32_e32 v3, vcc, v11, v6
	v_addc_co_u32_e32 v3, vcc, v12, v7, vcc
	v_addc_co_u32_e32 v5, vcc, 0, v5, vcc
	v_add_co_u32_e32 v3, vcc, v3, v4
	v_addc_co_u32_e32 v4, vcc, 0, v5, vcc
	v_mul_lo_u32 v6, s31, v3
	v_mul_lo_u32 v7, s30, v4
	v_mad_u64_u32 v[4:5], s[2:3], s30, v3, 0
	v_add3_u32 v5, v5, v7, v6
	v_sub_u32_e32 v6, v9, v5
	v_mov_b32_e32 v7, s31
	v_sub_co_u32_e32 v4, vcc, v10, v4
	v_subb_co_u32_e64 v6, s[2:3], v6, v7, vcc
	v_subrev_co_u32_e64 v7, s[2:3], s30, v4
	v_subbrev_co_u32_e64 v6, s[2:3], 0, v6, s[2:3]
	v_cmp_le_u32_e64 s[2:3], s31, v6
	v_subb_co_u32_e32 v5, vcc, v9, v5, vcc
	v_cndmask_b32_e64 v10, 0, -1, s[2:3]
	v_cmp_le_u32_e64 s[2:3], s30, v7
	v_cmp_le_u32_e32 vcc, s31, v5
	v_cndmask_b32_e64 v7, 0, -1, s[2:3]
	v_cmp_eq_u32_e64 s[2:3], s31, v6
	v_cndmask_b32_e64 v9, 0, -1, vcc
	v_cmp_le_u32_e32 vcc, s30, v4
	v_cndmask_b32_e64 v6, v10, v7, s[2:3]
	v_cndmask_b32_e64 v4, 0, -1, vcc
	v_cmp_eq_u32_e32 vcc, s31, v5
	v_add_co_u32_e64 v7, s[2:3], 2, v3
	v_add_co_u32_e64 v10, s[2:3], 1, v3
	v_cndmask_b32_e32 v4, v9, v4, vcc
	v_cmp_ne_u32_e32 vcc, 0, v6
	v_cndmask_b32_e32 v5, v10, v7, vcc
	v_cmp_ne_u32_e32 vcc, 0, v4
	v_cndmask_b32_e32 v3, v3, v5, vcc
	v_xor_b32_e32 v4, s28, v8
	v_xor_b32_e32 v3, v3, v4
	v_sub_co_u32_e32 v6, vcc, v3, v4
                                        ; implicit-def: $vgpr4_vgpr5
.LBB19_14:                              ;   in Loop: Header=BB19_4 Depth=1
	s_andn2_saveexec_b64 s[2:3], s[26:27]
	s_cbranch_execz .LBB19_2
; %bb.15:                               ;   in Loop: Header=BB19_4 Depth=1
	v_cvt_f32_u32_e32 v3, s33
	s_sub_i32 s26, 0, s33
	v_rcp_iflag_f32_e32 v3, v3
	v_mul_f32_e32 v3, 0x4f7ffffe, v3
	v_cvt_u32_f32_e32 v3, v3
	v_mul_lo_u32 v5, s26, v3
	v_mul_hi_u32 v5, v3, v5
	v_add_u32_e32 v3, v3, v5
	v_mul_hi_u32 v3, v4, v3
	v_mul_lo_u32 v5, v3, s33
	v_sub_u32_e32 v4, v4, v5
	v_add_u32_e32 v6, 1, v3
	v_subrev_u32_e32 v5, s33, v4
	v_cmp_le_u32_e32 vcc, s33, v4
	v_cndmask_b32_e32 v4, v4, v5, vcc
	v_cndmask_b32_e32 v3, v3, v6, vcc
	v_add_u32_e32 v5, 1, v3
	v_cmp_le_u32_e32 vcc, s33, v4
	v_cndmask_b32_e32 v6, v3, v5, vcc
	s_branch .LBB19_2
.LBB19_16:
	s_endpgm
	.section	.rodata,"a",@progbits
	.p2align	6, 0x0
	.amdhsa_kernel _ZN2at4cuda17kernelHistogram1DIlalLi1ELi2ELin1ELNS0_23CUDAHistogramMemoryTypeE1EZNS0_21CUDA_tensor_histogramIlaLb0EEEbNS_6TensorES4_S4_lNS_14AccumulateTypeIT0_Lb1EE4typeES8_NS0_13TensorArgTypeES9_S9_EUllE0_EEvNS0_6detail10TensorInfoIT_T1_EESF_NSC_IKS6_SE_EElS8_S8_SE_T6_
		.amdhsa_group_segment_fixed_size 0
		.amdhsa_private_segment_fixed_size 0
		.amdhsa_kernarg_size 1544
		.amdhsa_user_sgpr_count 6
		.amdhsa_user_sgpr_private_segment_buffer 1
		.amdhsa_user_sgpr_dispatch_ptr 0
		.amdhsa_user_sgpr_queue_ptr 0
		.amdhsa_user_sgpr_kernarg_segment_ptr 1
		.amdhsa_user_sgpr_dispatch_id 0
		.amdhsa_user_sgpr_flat_scratch_init 0
		.amdhsa_user_sgpr_kernarg_preload_length 0
		.amdhsa_user_sgpr_kernarg_preload_offset 0
		.amdhsa_user_sgpr_private_segment_size 0
		.amdhsa_uses_dynamic_stack 0
		.amdhsa_system_sgpr_private_segment_wavefront_offset 0
		.amdhsa_system_sgpr_workgroup_id_x 1
		.amdhsa_system_sgpr_workgroup_id_y 0
		.amdhsa_system_sgpr_workgroup_id_z 0
		.amdhsa_system_sgpr_workgroup_info 0
		.amdhsa_system_vgpr_workitem_id 0
		.amdhsa_next_free_vgpr 18
		.amdhsa_next_free_sgpr 41
		.amdhsa_accum_offset 20
		.amdhsa_reserve_vcc 1
		.amdhsa_reserve_flat_scratch 0
		.amdhsa_float_round_mode_32 0
		.amdhsa_float_round_mode_16_64 0
		.amdhsa_float_denorm_mode_32 3
		.amdhsa_float_denorm_mode_16_64 3
		.amdhsa_dx10_clamp 1
		.amdhsa_ieee_mode 1
		.amdhsa_fp16_overflow 0
		.amdhsa_tg_split 0
		.amdhsa_exception_fp_ieee_invalid_op 0
		.amdhsa_exception_fp_denorm_src 0
		.amdhsa_exception_fp_ieee_div_zero 0
		.amdhsa_exception_fp_ieee_overflow 0
		.amdhsa_exception_fp_ieee_underflow 0
		.amdhsa_exception_fp_ieee_inexact 0
		.amdhsa_exception_int_div_zero 0
	.end_amdhsa_kernel
	.section	.text._ZN2at4cuda17kernelHistogram1DIlalLi1ELi2ELin1ELNS0_23CUDAHistogramMemoryTypeE1EZNS0_21CUDA_tensor_histogramIlaLb0EEEbNS_6TensorES4_S4_lNS_14AccumulateTypeIT0_Lb1EE4typeES8_NS0_13TensorArgTypeES9_S9_EUllE0_EEvNS0_6detail10TensorInfoIT_T1_EESF_NSC_IKS6_SE_EElS8_S8_SE_T6_,"axG",@progbits,_ZN2at4cuda17kernelHistogram1DIlalLi1ELi2ELin1ELNS0_23CUDAHistogramMemoryTypeE1EZNS0_21CUDA_tensor_histogramIlaLb0EEEbNS_6TensorES4_S4_lNS_14AccumulateTypeIT0_Lb1EE4typeES8_NS0_13TensorArgTypeES9_S9_EUllE0_EEvNS0_6detail10TensorInfoIT_T1_EESF_NSC_IKS6_SE_EElS8_S8_SE_T6_,comdat
.Lfunc_end19:
	.size	_ZN2at4cuda17kernelHistogram1DIlalLi1ELi2ELin1ELNS0_23CUDAHistogramMemoryTypeE1EZNS0_21CUDA_tensor_histogramIlaLb0EEEbNS_6TensorES4_S4_lNS_14AccumulateTypeIT0_Lb1EE4typeES8_NS0_13TensorArgTypeES9_S9_EUllE0_EEvNS0_6detail10TensorInfoIT_T1_EESF_NSC_IKS6_SE_EElS8_S8_SE_T6_, .Lfunc_end19-_ZN2at4cuda17kernelHistogram1DIlalLi1ELi2ELin1ELNS0_23CUDAHistogramMemoryTypeE1EZNS0_21CUDA_tensor_histogramIlaLb0EEEbNS_6TensorES4_S4_lNS_14AccumulateTypeIT0_Lb1EE4typeES8_NS0_13TensorArgTypeES9_S9_EUllE0_EEvNS0_6detail10TensorInfoIT_T1_EESF_NSC_IKS6_SE_EElS8_S8_SE_T6_
                                        ; -- End function
	.section	.AMDGPU.csdata,"",@progbits
; Kernel info:
; codeLenInByte = 2208
; NumSgprs: 45
; NumVgprs: 18
; NumAgprs: 0
; TotalNumVgprs: 18
; ScratchSize: 0
; MemoryBound: 0
; FloatMode: 240
; IeeeMode: 1
; LDSByteSize: 0 bytes/workgroup (compile time only)
; SGPRBlocks: 5
; VGPRBlocks: 2
; NumSGPRsForWavesPerEU: 45
; NumVGPRsForWavesPerEU: 18
; AccumOffset: 20
; Occupancy: 8
; WaveLimiterHint : 1
; COMPUTE_PGM_RSRC2:SCRATCH_EN: 0
; COMPUTE_PGM_RSRC2:USER_SGPR: 6
; COMPUTE_PGM_RSRC2:TRAP_HANDLER: 0
; COMPUTE_PGM_RSRC2:TGID_X_EN: 1
; COMPUTE_PGM_RSRC2:TGID_Y_EN: 0
; COMPUTE_PGM_RSRC2:TGID_Z_EN: 0
; COMPUTE_PGM_RSRC2:TIDIG_COMP_CNT: 0
; COMPUTE_PGM_RSRC3_GFX90A:ACCUM_OFFSET: 4
; COMPUTE_PGM_RSRC3_GFX90A:TG_SPLIT: 0
	.section	.text._ZN2at4cuda17kernelHistogram1DIdalLi1ELi2ELin1ELNS0_23CUDAHistogramMemoryTypeE0EZNS0_21CUDA_tensor_histogramIdaLb1EEEbNS_6TensorES4_S4_lNS_14AccumulateTypeIT0_Lb1EE4typeES8_NS0_13TensorArgTypeES9_S9_EUllE_EEvNS0_6detail10TensorInfoIT_T1_EESF_NSC_IKS6_SE_EElS8_S8_SE_T6_,"axG",@progbits,_ZN2at4cuda17kernelHistogram1DIdalLi1ELi2ELin1ELNS0_23CUDAHistogramMemoryTypeE0EZNS0_21CUDA_tensor_histogramIdaLb1EEEbNS_6TensorES4_S4_lNS_14AccumulateTypeIT0_Lb1EE4typeES8_NS0_13TensorArgTypeES9_S9_EUllE_EEvNS0_6detail10TensorInfoIT_T1_EESF_NSC_IKS6_SE_EElS8_S8_SE_T6_,comdat
	.protected	_ZN2at4cuda17kernelHistogram1DIdalLi1ELi2ELin1ELNS0_23CUDAHistogramMemoryTypeE0EZNS0_21CUDA_tensor_histogramIdaLb1EEEbNS_6TensorES4_S4_lNS_14AccumulateTypeIT0_Lb1EE4typeES8_NS0_13TensorArgTypeES9_S9_EUllE_EEvNS0_6detail10TensorInfoIT_T1_EESF_NSC_IKS6_SE_EElS8_S8_SE_T6_ ; -- Begin function _ZN2at4cuda17kernelHistogram1DIdalLi1ELi2ELin1ELNS0_23CUDAHistogramMemoryTypeE0EZNS0_21CUDA_tensor_histogramIdaLb1EEEbNS_6TensorES4_S4_lNS_14AccumulateTypeIT0_Lb1EE4typeES8_NS0_13TensorArgTypeES9_S9_EUllE_EEvNS0_6detail10TensorInfoIT_T1_EESF_NSC_IKS6_SE_EElS8_S8_SE_T6_
	.globl	_ZN2at4cuda17kernelHistogram1DIdalLi1ELi2ELin1ELNS0_23CUDAHistogramMemoryTypeE0EZNS0_21CUDA_tensor_histogramIdaLb1EEEbNS_6TensorES4_S4_lNS_14AccumulateTypeIT0_Lb1EE4typeES8_NS0_13TensorArgTypeES9_S9_EUllE_EEvNS0_6detail10TensorInfoIT_T1_EESF_NSC_IKS6_SE_EElS8_S8_SE_T6_
	.p2align	8
	.type	_ZN2at4cuda17kernelHistogram1DIdalLi1ELi2ELin1ELNS0_23CUDAHistogramMemoryTypeE0EZNS0_21CUDA_tensor_histogramIdaLb1EEEbNS_6TensorES4_S4_lNS_14AccumulateTypeIT0_Lb1EE4typeES8_NS0_13TensorArgTypeES9_S9_EUllE_EEvNS0_6detail10TensorInfoIT_T1_EESF_NSC_IKS6_SE_EElS8_S8_SE_T6_,@function
_ZN2at4cuda17kernelHistogram1DIdalLi1ELi2ELin1ELNS0_23CUDAHistogramMemoryTypeE0EZNS0_21CUDA_tensor_histogramIdaLb1EEEbNS_6TensorES4_S4_lNS_14AccumulateTypeIT0_Lb1EE4typeES8_NS0_13TensorArgTypeES9_S9_EUllE_EEvNS0_6detail10TensorInfoIT_T1_EESF_NSC_IKS6_SE_EElS8_S8_SE_T6_: ; @_ZN2at4cuda17kernelHistogram1DIdalLi1ELi2ELin1ELNS0_23CUDAHistogramMemoryTypeE0EZNS0_21CUDA_tensor_histogramIdaLb1EEEbNS_6TensorES4_S4_lNS_14AccumulateTypeIT0_Lb1EE4typeES8_NS0_13TensorArgTypeES9_S9_EUllE_EEvNS0_6detail10TensorInfoIT_T1_EESF_NSC_IKS6_SE_EElS8_S8_SE_T6_
; %bb.0:
	s_load_dwordx4 s[16:19], s[4:5], 0x0
	s_load_dwordx2 s[20:21], s[4:5], 0x500
	s_load_dwordx8 s[8:15], s[4:5], 0x4e0
	v_mov_b32_e32 v1, 0
	s_add_u32 s2, s4, 0x6a0
	s_waitcnt lgkmcnt(0)
	v_cmp_gt_i64_e64 s[0:1], s[18:19], v[0:1]
	v_cmp_le_i64_e32 vcc, s[18:19], v[0:1]
	s_addc_u32 s3, s5, 0
                                        ; implicit-def: $sgpr7
                                        ; implicit-def: $sgpr28
	s_and_saveexec_b64 s[22:23], vcc
	s_xor_b64 s[22:23], exec, s[22:23]
	s_cbranch_execz .LBB20_2
; %bb.1:
	s_load_dword s7, s[2:3], 0xc
	s_waitcnt lgkmcnt(0)
	s_and_b32 s28, s7, 0xffff
.LBB20_2:
	s_or_saveexec_b64 s[26:27], s[22:23]
	s_load_dwordx2 s[22:23], s[4:5], 0xd0
	s_load_dwordx2 s[24:25], s[4:5], 0x5d0
	v_mov_b32_e32 v7, s7
	v_mov_b32_e32 v15, s28
	v_lshl_add_u32 v14, v0, 3, 0
	s_xor_b64 exec, exec, s[26:27]
	s_cbranch_execz .LBB20_6
; %bb.3:
	s_load_dword s7, s[2:3], 0xc
	s_mov_b32 s33, 0
	v_mov_b32_e32 v2, 0
	v_lshl_add_u32 v6, v0, 3, 0
	s_mov_b64 s[28:29], 0
	s_waitcnt lgkmcnt(0)
	s_and_b32 s30, s7, 0xffff
	s_lshl_b32 s31, s30, 3
	v_mov_b32_e32 v3, v2
	v_mov_b32_e32 v7, s33
	v_pk_mov_b32 v[4:5], v[0:1], v[0:1] op_sel:[0,1]
.LBB20_4:                               ; =>This Inner Loop Header: Depth=1
	v_add_co_u32_e32 v4, vcc, s30, v4
	v_addc_co_u32_e32 v5, vcc, v5, v7, vcc
	v_cmp_le_i64_e32 vcc, s[18:19], v[4:5]
	ds_write_b64 v6, v[2:3]
	s_or_b64 s[28:29], vcc, s[28:29]
	v_add_u32_e32 v6, s31, v6
	s_andn2_b64 exec, exec, s[28:29]
	s_cbranch_execnz .LBB20_4
; %bb.5:
	s_or_b64 exec, exec, s[28:29]
	v_mov_b32_e32 v7, s7
	v_mov_b32_e32 v15, s30
.LBB20_6:
	s_or_b64 exec, exec, s[26:27]
	v_mad_u64_u32 v[2:3], s[6:7], s6, v15, v[0:1]
	v_mov_b32_e32 v4, 0
	v_mov_b32_e32 v3, v4
	v_cmp_gt_i64_e32 vcc, s[14:15], v[2:3]
	s_waitcnt lgkmcnt(0)
	s_barrier
	s_and_saveexec_b64 s[6:7], vcc
	s_cbranch_execz .LBB20_22
; %bb.7:
	s_load_dword s30, s[4:5], 0x4d8
	s_load_dwordx2 s[26:27], s[4:5], 0x410
	s_load_dwordx2 s[28:29], s[4:5], 0x340
	s_add_u32 s31, s4, 0x340
	s_addc_u32 s35, s5, 0
	s_waitcnt lgkmcnt(0)
	s_cmp_gt_i32 s30, 1
	s_load_dword s34, s[2:3], 0x0
	s_cselect_b64 s[2:3], -1, 0
	s_sub_u32 s33, s12, s10
	s_subb_u32 s48, s13, s11
	s_mov_b32 s5, 0
	s_add_i32 s4, s30, -1
	s_add_i32 s49, s30, 1
	s_lshl_b64 s[4:5], s[4:5], 3
	s_add_u32 s4, s4, s31
	s_addc_u32 s5, s5, s35
	s_add_u32 s30, s4, 8
	v_cndmask_b32_e64 v5, 0, 1, s[2:3]
	s_waitcnt lgkmcnt(0)
	v_mul_lo_u32 v6, s34, v15
	s_addc_u32 s31, s5, 0
	s_mov_b64 s[34:35], 0
	v_cmp_ne_u32_e64 s[2:3], 1, v5
	s_mov_b64 s[36:37], src_shared_base
	s_branch .LBB20_10
.LBB20_8:                               ;   in Loop: Header=BB20_10 Depth=1
	s_or_b64 exec, exec, s[4:5]
	v_mul_lo_u32 v5, v3, s24
	v_mul_lo_u32 v11, v2, s25
	v_mad_u64_u32 v[8:9], s[4:5], v2, s24, 0
	v_add3_u32 v9, v9, v11, v5
	v_lshlrev_b64 v[8:9], 3, v[8:9]
	v_mov_b32_e32 v5, s21
	v_add_co_u32_e32 v8, vcc, s20, v8
	v_addc_co_u32_e32 v9, vcc, v5, v9, vcc
	global_load_dwordx2 v[8:9], v[8:9], off
	v_ashrrev_i32_e32 v11, 31, v10
	v_cmp_eq_u64_e32 vcc, s[8:9], v[10:11]
	v_subbrev_co_u32_e32 v5, vcc, 0, v10, vcc
	v_lshl_add_u32 v10, v5, 3, 0
	v_mov_b32_e32 v11, s37
	s_waitcnt vmcnt(0)
	flat_atomic_add_f64 v[10:11], v[8:9]
.LBB20_9:                               ;   in Loop: Header=BB20_10 Depth=1
	s_or_b64 exec, exec, s[38:39]
	v_add_co_u32_e32 v2, vcc, v2, v6
	v_addc_co_u32_e32 v3, vcc, 0, v3, vcc
	v_cmp_le_i64_e32 vcc, s[14:15], v[2:3]
	s_or_b64 s[34:35], vcc, s[34:35]
	s_andn2_b64 exec, exec, s[34:35]
	s_cbranch_execz .LBB20_22
.LBB20_10:                              ; =>This Loop Header: Depth=1
                                        ;     Child Loop BB20_11 Depth 2
	s_and_b64 vcc, exec, s[2:3]
	v_pk_mov_b32 v[8:9], 0, 0
	s_mov_b64 s[38:39], s[30:31]
	s_mov_b32 s36, s49
	v_pk_mov_b32 v[10:11], v[2:3], v[2:3] op_sel:[0,1]
	v_pk_mov_b32 v[12:13], v[2:3], v[2:3] op_sel:[0,1]
	s_cbranch_vccnz .LBB20_17
.LBB20_11:                              ;   Parent Loop BB20_10 Depth=1
                                        ; =>  This Inner Loop Header: Depth=2
	s_load_dwordx2 s[40:41], s[38:39], 0x0
                                        ; implicit-def: $vgpr12_vgpr13
	s_waitcnt lgkmcnt(0)
	v_or_b32_e32 v5, s41, v11
	v_cmp_ne_u64_e32 vcc, 0, v[4:5]
	s_and_saveexec_b64 s[4:5], vcc
	s_xor_b64 s[42:43], exec, s[4:5]
	s_cbranch_execz .LBB20_13
; %bb.12:                               ;   in Loop: Header=BB20_11 Depth=2
	s_ashr_i32 s44, s41, 31
	s_add_u32 s4, s40, s44
	s_mov_b32 s45, s44
	s_addc_u32 s5, s41, s44
	s_xor_b64 s[46:47], s[4:5], s[44:45]
	v_cvt_f32_u32_e32 v5, s46
	v_cvt_f32_u32_e32 v12, s47
	s_sub_u32 s4, 0, s46
	s_subb_u32 s5, 0, s47
	v_mac_f32_e32 v5, 0x4f800000, v12
	v_rcp_f32_e32 v5, v5
	v_mul_f32_e32 v5, 0x5f7ffffc, v5
	v_mul_f32_e32 v12, 0x2f800000, v5
	v_trunc_f32_e32 v12, v12
	v_mac_f32_e32 v5, 0xcf800000, v12
	v_cvt_u32_f32_e32 v12, v12
	v_cvt_u32_f32_e32 v5, v5
	v_mul_lo_u32 v13, s4, v12
	v_mul_hi_u32 v17, s4, v5
	v_mul_lo_u32 v16, s5, v5
	v_add_u32_e32 v13, v17, v13
	v_mul_lo_u32 v18, s4, v5
	v_add_u32_e32 v13, v13, v16
	v_mul_lo_u32 v17, v5, v13
	v_mul_hi_u32 v19, v5, v18
	v_mul_hi_u32 v16, v5, v13
	v_add_co_u32_e32 v17, vcc, v19, v17
	v_addc_co_u32_e32 v16, vcc, 0, v16, vcc
	v_mul_hi_u32 v20, v12, v18
	v_mul_lo_u32 v18, v12, v18
	v_add_co_u32_e32 v17, vcc, v17, v18
	v_mul_hi_u32 v19, v12, v13
	v_addc_co_u32_e32 v16, vcc, v16, v20, vcc
	v_addc_co_u32_e32 v17, vcc, 0, v19, vcc
	v_mul_lo_u32 v13, v12, v13
	v_add_co_u32_e32 v13, vcc, v16, v13
	v_addc_co_u32_e32 v16, vcc, 0, v17, vcc
	v_add_co_u32_e32 v5, vcc, v5, v13
	v_addc_co_u32_e32 v12, vcc, v12, v16, vcc
	v_mul_lo_u32 v13, s4, v12
	v_mul_hi_u32 v16, s4, v5
	v_add_u32_e32 v13, v16, v13
	v_mul_lo_u32 v16, s5, v5
	v_add_u32_e32 v13, v13, v16
	v_mul_lo_u32 v17, s4, v5
	v_mul_hi_u32 v18, v12, v17
	v_mul_lo_u32 v19, v12, v17
	v_mul_lo_u32 v21, v5, v13
	v_mul_hi_u32 v17, v5, v17
	v_mul_hi_u32 v20, v5, v13
	v_add_co_u32_e32 v17, vcc, v17, v21
	v_addc_co_u32_e32 v20, vcc, 0, v20, vcc
	v_add_co_u32_e32 v17, vcc, v17, v19
	v_mul_hi_u32 v16, v12, v13
	v_addc_co_u32_e32 v17, vcc, v20, v18, vcc
	v_addc_co_u32_e32 v16, vcc, 0, v16, vcc
	v_mul_lo_u32 v13, v12, v13
	v_add_co_u32_e32 v13, vcc, v17, v13
	v_addc_co_u32_e32 v16, vcc, 0, v16, vcc
	v_add_co_u32_e32 v5, vcc, v5, v13
	v_addc_co_u32_e32 v16, vcc, v12, v16, vcc
	v_ashrrev_i32_e32 v18, 31, v11
	v_add_co_u32_e32 v12, vcc, v10, v18
	v_addc_co_u32_e32 v13, vcc, v11, v18, vcc
	v_xor_b32_e32 v20, v12, v18
	v_xor_b32_e32 v19, v13, v18
	v_mad_u64_u32 v[12:13], s[4:5], v20, v16, 0
	v_mul_hi_u32 v17, v20, v5
	v_add_co_u32_e32 v21, vcc, v17, v12
	v_addc_co_u32_e32 v22, vcc, 0, v13, vcc
	v_mad_u64_u32 v[12:13], s[4:5], v19, v16, 0
	v_mad_u64_u32 v[16:17], s[4:5], v19, v5, 0
	v_add_co_u32_e32 v5, vcc, v21, v16
	v_addc_co_u32_e32 v5, vcc, v22, v17, vcc
	v_addc_co_u32_e32 v13, vcc, 0, v13, vcc
	v_add_co_u32_e32 v5, vcc, v5, v12
	v_addc_co_u32_e32 v16, vcc, 0, v13, vcc
	v_mul_lo_u32 v17, s47, v5
	v_mul_lo_u32 v21, s46, v16
	v_mad_u64_u32 v[12:13], s[4:5], s46, v5, 0
	v_add3_u32 v13, v13, v21, v17
	v_sub_u32_e32 v17, v19, v13
	v_mov_b32_e32 v21, s47
	v_sub_co_u32_e32 v12, vcc, v20, v12
	v_subb_co_u32_e64 v17, s[4:5], v17, v21, vcc
	v_subrev_co_u32_e64 v20, s[4:5], s46, v12
	v_subbrev_co_u32_e64 v17, s[4:5], 0, v17, s[4:5]
	v_cmp_le_u32_e64 s[4:5], s47, v17
	v_cndmask_b32_e64 v21, 0, -1, s[4:5]
	v_cmp_le_u32_e64 s[4:5], s46, v20
	v_cndmask_b32_e64 v20, 0, -1, s[4:5]
	v_cmp_eq_u32_e64 s[4:5], s47, v17
	v_cndmask_b32_e64 v17, v21, v20, s[4:5]
	v_add_co_u32_e64 v20, s[4:5], 2, v5
	v_subb_co_u32_e32 v13, vcc, v19, v13, vcc
	v_addc_co_u32_e64 v21, s[4:5], 0, v16, s[4:5]
	v_cmp_le_u32_e32 vcc, s47, v13
	v_add_co_u32_e64 v22, s[4:5], 1, v5
	v_cndmask_b32_e64 v19, 0, -1, vcc
	v_cmp_le_u32_e32 vcc, s46, v12
	v_addc_co_u32_e64 v23, s[4:5], 0, v16, s[4:5]
	v_cndmask_b32_e64 v12, 0, -1, vcc
	v_cmp_eq_u32_e32 vcc, s47, v13
	v_cmp_ne_u32_e64 s[4:5], 0, v17
	v_cndmask_b32_e32 v12, v19, v12, vcc
	v_cmp_ne_u32_e32 vcc, 0, v12
	v_cndmask_b32_e64 v13, v22, v20, s[4:5]
	v_cndmask_b32_e64 v17, v23, v21, s[4:5]
	v_cndmask_b32_e32 v5, v5, v13, vcc
	v_xor_b32_e32 v13, s44, v18
	v_cndmask_b32_e32 v12, v16, v17, vcc
	v_xor_b32_e32 v5, v5, v13
	v_xor_b32_e32 v16, v12, v13
	v_sub_co_u32_e32 v12, vcc, v5, v13
	v_subb_co_u32_e32 v13, vcc, v16, v13, vcc
.LBB20_13:                              ;   in Loop: Header=BB20_11 Depth=2
	s_andn2_saveexec_b64 s[4:5], s[42:43]
	s_cbranch_execz .LBB20_15
; %bb.14:                               ;   in Loop: Header=BB20_11 Depth=2
	v_cvt_f32_u32_e32 v5, s40
	s_sub_i32 s42, 0, s40
	v_rcp_iflag_f32_e32 v5, v5
	v_mul_f32_e32 v5, 0x4f7ffffe, v5
	v_cvt_u32_f32_e32 v5, v5
	v_mul_lo_u32 v12, s42, v5
	v_mul_hi_u32 v12, v5, v12
	v_add_u32_e32 v5, v5, v12
	v_mul_hi_u32 v5, v10, v5
	v_mul_lo_u32 v12, v5, s40
	v_sub_u32_e32 v12, v10, v12
	v_add_u32_e32 v13, 1, v5
	v_subrev_u32_e32 v16, s40, v12
	v_cmp_le_u32_e32 vcc, s40, v12
	v_cndmask_b32_e32 v12, v12, v16, vcc
	v_cndmask_b32_e32 v5, v5, v13, vcc
	v_add_u32_e32 v13, 1, v5
	v_cmp_le_u32_e32 vcc, s40, v12
	v_cndmask_b32_e32 v12, v5, v13, vcc
	v_mov_b32_e32 v13, v4
.LBB20_15:                              ;   in Loop: Header=BB20_11 Depth=2
	s_or_b64 exec, exec, s[4:5]
	v_mad_u64_u32 v[16:17], s[4:5], v12, s40, 0
	s_load_dwordx2 s[4:5], s[38:39], 0xc8
	v_mul_lo_u32 v5, v13, s40
	v_mul_lo_u32 v18, v12, s41
	v_add3_u32 v5, v17, v18, v5
	v_sub_co_u32_e32 v10, vcc, v10, v16
	s_add_i32 s36, s36, -1
	v_subb_co_u32_e32 v5, vcc, v11, v5, vcc
	s_add_u32 s38, s38, -8
	s_waitcnt lgkmcnt(0)
	v_mul_lo_u32 v5, s4, v5
	v_mul_lo_u32 v11, s5, v10
	v_mad_u64_u32 v[8:9], s[4:5], s4, v10, v[8:9]
	s_addc_u32 s39, s39, -1
	s_cmp_gt_u32 s36, 2
	v_add3_u32 v9, v11, v9, v5
	s_cbranch_scc0 .LBB20_17
; %bb.16:                               ;   in Loop: Header=BB20_11 Depth=2
	v_pk_mov_b32 v[10:11], v[12:13], v[12:13] op_sel:[0,1]
	s_branch .LBB20_11
.LBB20_17:                              ;   in Loop: Header=BB20_10 Depth=1
	v_pk_mov_b32 v[10:11], s[28:29], s[28:29] op_sel:[0,1]
	v_mad_u64_u32 v[10:11], s[4:5], s26, v12, v[10:11]
	v_mul_lo_u32 v5, s26, v13
	v_mul_lo_u32 v12, s27, v12
	v_add3_u32 v5, v12, v11, v5
	v_add_co_u32_e32 v8, vcc, v10, v8
	v_addc_co_u32_e32 v9, vcc, v5, v9, vcc
	global_load_sbyte v5, v[8:9], off
	s_waitcnt vmcnt(0)
	v_bfe_i32 v8, v5, 0, 16
	v_ashrrev_i32_e32 v9, 31, v8
	v_cmp_le_i64_e32 vcc, s[10:11], v[8:9]
	v_cmp_ge_i64_e64 s[4:5], s[12:13], v[8:9]
	s_and_b64 s[4:5], vcc, s[4:5]
	s_and_saveexec_b64 s[38:39], s[4:5]
	s_cbranch_execz .LBB20_9
; %bb.18:                               ;   in Loop: Header=BB20_10 Depth=1
	v_mov_b32_e32 v5, s11
	v_subrev_co_u32_e32 v8, vcc, s10, v8
	v_subb_co_u32_e32 v5, vcc, v9, v5, vcc
	v_mul_lo_u32 v5, v5, s8
	v_mul_lo_u32 v10, v8, s9
	v_mad_u64_u32 v[8:9], s[4:5], v8, s8, 0
	v_add3_u32 v9, v9, v10, v5
	v_or_b32_e32 v5, s48, v9
	v_cmp_ne_u64_e32 vcc, 0, v[4:5]
                                        ; implicit-def: $vgpr10_vgpr11
	s_and_saveexec_b64 s[4:5], vcc
	s_xor_b64 s[40:41], exec, s[4:5]
	s_cbranch_execz .LBB20_20
; %bb.19:                               ;   in Loop: Header=BB20_10 Depth=1
	s_ashr_i32 s42, s48, 31
	s_add_u32 s4, s33, s42
	s_mov_b32 s43, s42
	s_addc_u32 s5, s48, s42
	s_xor_b64 s[44:45], s[4:5], s[42:43]
	v_cvt_f32_u32_e32 v5, s44
	v_cvt_f32_u32_e32 v10, s45
	s_sub_u32 s4, 0, s44
	s_subb_u32 s5, 0, s45
	v_mac_f32_e32 v5, 0x4f800000, v10
	v_rcp_f32_e32 v5, v5
	v_mul_f32_e32 v5, 0x5f7ffffc, v5
	v_mul_f32_e32 v10, 0x2f800000, v5
	v_trunc_f32_e32 v10, v10
	v_mac_f32_e32 v5, 0xcf800000, v10
	v_cvt_u32_f32_e32 v10, v10
	v_cvt_u32_f32_e32 v5, v5
	v_mul_lo_u32 v11, s4, v10
	v_mul_hi_u32 v13, s4, v5
	v_mul_lo_u32 v12, s5, v5
	v_add_u32_e32 v11, v13, v11
	v_mul_lo_u32 v16, s4, v5
	v_add_u32_e32 v11, v11, v12
	v_mul_lo_u32 v13, v5, v11
	v_mul_hi_u32 v17, v5, v16
	v_mul_hi_u32 v12, v5, v11
	v_add_co_u32_e32 v13, vcc, v17, v13
	v_addc_co_u32_e32 v12, vcc, 0, v12, vcc
	v_mul_hi_u32 v18, v10, v16
	v_mul_lo_u32 v16, v10, v16
	v_add_co_u32_e32 v13, vcc, v13, v16
	v_mul_hi_u32 v17, v10, v11
	v_addc_co_u32_e32 v12, vcc, v12, v18, vcc
	v_addc_co_u32_e32 v13, vcc, 0, v17, vcc
	v_mul_lo_u32 v11, v10, v11
	v_add_co_u32_e32 v11, vcc, v12, v11
	v_addc_co_u32_e32 v12, vcc, 0, v13, vcc
	v_add_co_u32_e32 v5, vcc, v5, v11
	v_addc_co_u32_e32 v10, vcc, v10, v12, vcc
	v_mul_lo_u32 v11, s4, v10
	v_mul_hi_u32 v12, s4, v5
	v_add_u32_e32 v11, v12, v11
	v_mul_lo_u32 v12, s5, v5
	v_add_u32_e32 v11, v11, v12
	v_mul_lo_u32 v13, s4, v5
	v_mul_hi_u32 v16, v10, v13
	v_mul_lo_u32 v17, v10, v13
	v_mul_lo_u32 v19, v5, v11
	v_mul_hi_u32 v13, v5, v13
	v_mul_hi_u32 v18, v5, v11
	v_add_co_u32_e32 v13, vcc, v13, v19
	v_addc_co_u32_e32 v18, vcc, 0, v18, vcc
	v_add_co_u32_e32 v13, vcc, v13, v17
	v_mul_hi_u32 v12, v10, v11
	v_addc_co_u32_e32 v13, vcc, v18, v16, vcc
	v_addc_co_u32_e32 v12, vcc, 0, v12, vcc
	v_mul_lo_u32 v11, v10, v11
	v_add_co_u32_e32 v11, vcc, v13, v11
	v_addc_co_u32_e32 v12, vcc, 0, v12, vcc
	v_add_co_u32_e32 v5, vcc, v5, v11
	v_addc_co_u32_e32 v10, vcc, v10, v12, vcc
	v_ashrrev_i32_e32 v12, 31, v9
	v_add_co_u32_e32 v8, vcc, v8, v12
	v_addc_co_u32_e32 v9, vcc, v9, v12, vcc
	v_xor_b32_e32 v16, v8, v12
	v_xor_b32_e32 v13, v9, v12
	v_mad_u64_u32 v[8:9], s[4:5], v16, v10, 0
	v_mul_hi_u32 v11, v16, v5
	v_add_co_u32_e32 v17, vcc, v11, v8
	v_addc_co_u32_e32 v18, vcc, 0, v9, vcc
	v_mad_u64_u32 v[8:9], s[4:5], v13, v10, 0
	v_mad_u64_u32 v[10:11], s[4:5], v13, v5, 0
	v_add_co_u32_e32 v5, vcc, v17, v10
	v_addc_co_u32_e32 v5, vcc, v18, v11, vcc
	v_addc_co_u32_e32 v9, vcc, 0, v9, vcc
	v_add_co_u32_e32 v5, vcc, v5, v8
	v_addc_co_u32_e32 v8, vcc, 0, v9, vcc
	v_mul_lo_u32 v10, s45, v5
	v_mul_lo_u32 v11, s44, v8
	v_mad_u64_u32 v[8:9], s[4:5], s44, v5, 0
	v_add3_u32 v9, v9, v11, v10
	v_sub_u32_e32 v10, v13, v9
	v_mov_b32_e32 v11, s45
	v_sub_co_u32_e32 v8, vcc, v16, v8
	v_subb_co_u32_e64 v10, s[4:5], v10, v11, vcc
	v_subrev_co_u32_e64 v11, s[4:5], s44, v8
	v_subbrev_co_u32_e64 v10, s[4:5], 0, v10, s[4:5]
	v_cmp_le_u32_e64 s[4:5], s45, v10
	v_subb_co_u32_e32 v9, vcc, v13, v9, vcc
	v_cndmask_b32_e64 v16, 0, -1, s[4:5]
	v_cmp_le_u32_e64 s[4:5], s44, v11
	v_cmp_le_u32_e32 vcc, s45, v9
	v_cndmask_b32_e64 v11, 0, -1, s[4:5]
	v_cmp_eq_u32_e64 s[4:5], s45, v10
	v_cndmask_b32_e64 v13, 0, -1, vcc
	v_cmp_le_u32_e32 vcc, s44, v8
	v_cndmask_b32_e64 v10, v16, v11, s[4:5]
	v_cndmask_b32_e64 v8, 0, -1, vcc
	v_cmp_eq_u32_e32 vcc, s45, v9
	v_add_co_u32_e64 v11, s[4:5], 2, v5
	v_add_co_u32_e64 v16, s[4:5], 1, v5
	v_cndmask_b32_e32 v8, v13, v8, vcc
	v_cmp_ne_u32_e32 vcc, 0, v10
	v_cndmask_b32_e32 v9, v16, v11, vcc
	v_cmp_ne_u32_e32 vcc, 0, v8
	v_cndmask_b32_e32 v5, v5, v9, vcc
	v_xor_b32_e32 v8, s42, v12
	v_xor_b32_e32 v5, v5, v8
	v_sub_co_u32_e32 v10, vcc, v5, v8
                                        ; implicit-def: $vgpr8_vgpr9
.LBB20_20:                              ;   in Loop: Header=BB20_10 Depth=1
	s_andn2_saveexec_b64 s[4:5], s[40:41]
	s_cbranch_execz .LBB20_8
; %bb.21:                               ;   in Loop: Header=BB20_10 Depth=1
	v_cvt_f32_u32_e32 v5, s33
	s_sub_i32 s36, 0, s33
	v_rcp_iflag_f32_e32 v5, v5
	v_mul_f32_e32 v5, 0x4f7ffffe, v5
	v_cvt_u32_f32_e32 v5, v5
	v_mul_lo_u32 v9, s36, v5
	v_mul_hi_u32 v9, v5, v9
	v_add_u32_e32 v5, v5, v9
	v_mul_hi_u32 v5, v8, v5
	v_mul_lo_u32 v9, v5, s33
	v_sub_u32_e32 v8, v8, v9
	v_add_u32_e32 v10, 1, v5
	v_subrev_u32_e32 v9, s33, v8
	v_cmp_le_u32_e32 vcc, s33, v8
	v_cndmask_b32_e32 v8, v8, v9, vcc
	v_cndmask_b32_e32 v5, v5, v10, vcc
	v_add_u32_e32 v9, 1, v5
	v_cmp_le_u32_e32 vcc, s33, v8
	v_cndmask_b32_e32 v10, v5, v9, vcc
	s_branch .LBB20_8
.LBB20_22:
	s_or_b64 exec, exec, s[6:7]
; %bb.23:
	s_waitcnt lgkmcnt(0)
	s_barrier
	s_and_saveexec_b64 s[2:3], s[0:1]
	s_cbranch_execz .LBB20_26
; %bb.24:
	v_mad_u64_u32 v[4:5], s[0:1], s22, v0, 0
	v_mov_b32_e32 v6, v5
	v_and_b32_e32 v2, 0xffff, v7
	v_mad_u64_u32 v[6:7], s[0:1], s23, v0, v[6:7]
	v_mov_b32_e32 v5, v6
	v_mad_u64_u32 v[6:7], s[0:1], s22, v2, 0
	v_mov_b32_e32 v8, v7
	v_lshlrev_b64 v[4:5], 3, v[4:5]
	v_mad_u64_u32 v[8:9], s[0:1], s23, v2, v[8:9]
	v_mov_b32_e32 v3, s17
	v_add_co_u32_e32 v4, vcc, s16, v4
	v_mov_b32_e32 v7, v8
	v_addc_co_u32_e32 v5, vcc, v3, v5, vcc
	v_lshlrev_b64 v[6:7], 3, v[6:7]
	v_lshlrev_b32_e32 v3, 3, v15
	s_mov_b64 s[0:1], 0
.LBB20_25:                              ; =>This Inner Loop Header: Depth=1
	ds_read_b64 v[8:9], v14
	v_add_co_u32_e32 v0, vcc, v0, v2
	v_addc_co_u32_e32 v1, vcc, 0, v1, vcc
	s_waitcnt lgkmcnt(0)
	global_atomic_add_f64 v[4:5], v[8:9], off
	v_cmp_le_i64_e32 vcc, s[18:19], v[0:1]
	s_or_b64 s[0:1], vcc, s[0:1]
	v_add_co_u32_e32 v4, vcc, v4, v6
	v_add_u32_e32 v14, v14, v3
	v_addc_co_u32_e32 v5, vcc, v5, v7, vcc
	s_andn2_b64 exec, exec, s[0:1]
	s_cbranch_execnz .LBB20_25
.LBB20_26:
	s_endpgm
	.section	.rodata,"a",@progbits
	.p2align	6, 0x0
	.amdhsa_kernel _ZN2at4cuda17kernelHistogram1DIdalLi1ELi2ELin1ELNS0_23CUDAHistogramMemoryTypeE0EZNS0_21CUDA_tensor_histogramIdaLb1EEEbNS_6TensorES4_S4_lNS_14AccumulateTypeIT0_Lb1EE4typeES8_NS0_13TensorArgTypeES9_S9_EUllE_EEvNS0_6detail10TensorInfoIT_T1_EESF_NSC_IKS6_SE_EElS8_S8_SE_T6_
		.amdhsa_group_segment_fixed_size 0
		.amdhsa_private_segment_fixed_size 0
		.amdhsa_kernarg_size 1952
		.amdhsa_user_sgpr_count 6
		.amdhsa_user_sgpr_private_segment_buffer 1
		.amdhsa_user_sgpr_dispatch_ptr 0
		.amdhsa_user_sgpr_queue_ptr 0
		.amdhsa_user_sgpr_kernarg_segment_ptr 1
		.amdhsa_user_sgpr_dispatch_id 0
		.amdhsa_user_sgpr_flat_scratch_init 0
		.amdhsa_user_sgpr_kernarg_preload_length 0
		.amdhsa_user_sgpr_kernarg_preload_offset 0
		.amdhsa_user_sgpr_private_segment_size 0
		.amdhsa_uses_dynamic_stack 0
		.amdhsa_system_sgpr_private_segment_wavefront_offset 0
		.amdhsa_system_sgpr_workgroup_id_x 1
		.amdhsa_system_sgpr_workgroup_id_y 0
		.amdhsa_system_sgpr_workgroup_id_z 0
		.amdhsa_system_sgpr_workgroup_info 0
		.amdhsa_system_vgpr_workitem_id 0
		.amdhsa_next_free_vgpr 24
		.amdhsa_next_free_sgpr 50
		.amdhsa_accum_offset 24
		.amdhsa_reserve_vcc 1
		.amdhsa_reserve_flat_scratch 0
		.amdhsa_float_round_mode_32 0
		.amdhsa_float_round_mode_16_64 0
		.amdhsa_float_denorm_mode_32 3
		.amdhsa_float_denorm_mode_16_64 3
		.amdhsa_dx10_clamp 1
		.amdhsa_ieee_mode 1
		.amdhsa_fp16_overflow 0
		.amdhsa_tg_split 0
		.amdhsa_exception_fp_ieee_invalid_op 0
		.amdhsa_exception_fp_denorm_src 0
		.amdhsa_exception_fp_ieee_div_zero 0
		.amdhsa_exception_fp_ieee_overflow 0
		.amdhsa_exception_fp_ieee_underflow 0
		.amdhsa_exception_fp_ieee_inexact 0
		.amdhsa_exception_int_div_zero 0
	.end_amdhsa_kernel
	.section	.text._ZN2at4cuda17kernelHistogram1DIdalLi1ELi2ELin1ELNS0_23CUDAHistogramMemoryTypeE0EZNS0_21CUDA_tensor_histogramIdaLb1EEEbNS_6TensorES4_S4_lNS_14AccumulateTypeIT0_Lb1EE4typeES8_NS0_13TensorArgTypeES9_S9_EUllE_EEvNS0_6detail10TensorInfoIT_T1_EESF_NSC_IKS6_SE_EElS8_S8_SE_T6_,"axG",@progbits,_ZN2at4cuda17kernelHistogram1DIdalLi1ELi2ELin1ELNS0_23CUDAHistogramMemoryTypeE0EZNS0_21CUDA_tensor_histogramIdaLb1EEEbNS_6TensorES4_S4_lNS_14AccumulateTypeIT0_Lb1EE4typeES8_NS0_13TensorArgTypeES9_S9_EUllE_EEvNS0_6detail10TensorInfoIT_T1_EESF_NSC_IKS6_SE_EElS8_S8_SE_T6_,comdat
.Lfunc_end20:
	.size	_ZN2at4cuda17kernelHistogram1DIdalLi1ELi2ELin1ELNS0_23CUDAHistogramMemoryTypeE0EZNS0_21CUDA_tensor_histogramIdaLb1EEEbNS_6TensorES4_S4_lNS_14AccumulateTypeIT0_Lb1EE4typeES8_NS0_13TensorArgTypeES9_S9_EUllE_EEvNS0_6detail10TensorInfoIT_T1_EESF_NSC_IKS6_SE_EElS8_S8_SE_T6_, .Lfunc_end20-_ZN2at4cuda17kernelHistogram1DIdalLi1ELi2ELin1ELNS0_23CUDAHistogramMemoryTypeE0EZNS0_21CUDA_tensor_histogramIdaLb1EEEbNS_6TensorES4_S4_lNS_14AccumulateTypeIT0_Lb1EE4typeES8_NS0_13TensorArgTypeES9_S9_EUllE_EEvNS0_6detail10TensorInfoIT_T1_EESF_NSC_IKS6_SE_EElS8_S8_SE_T6_
                                        ; -- End function
	.section	.AMDGPU.csdata,"",@progbits
; Kernel info:
; codeLenInByte = 2576
; NumSgprs: 54
; NumVgprs: 24
; NumAgprs: 0
; TotalNumVgprs: 24
; ScratchSize: 0
; MemoryBound: 0
; FloatMode: 240
; IeeeMode: 1
; LDSByteSize: 0 bytes/workgroup (compile time only)
; SGPRBlocks: 6
; VGPRBlocks: 2
; NumSGPRsForWavesPerEU: 54
; NumVGPRsForWavesPerEU: 24
; AccumOffset: 24
; Occupancy: 8
; WaveLimiterHint : 1
; COMPUTE_PGM_RSRC2:SCRATCH_EN: 0
; COMPUTE_PGM_RSRC2:USER_SGPR: 6
; COMPUTE_PGM_RSRC2:TRAP_HANDLER: 0
; COMPUTE_PGM_RSRC2:TGID_X_EN: 1
; COMPUTE_PGM_RSRC2:TGID_Y_EN: 0
; COMPUTE_PGM_RSRC2:TGID_Z_EN: 0
; COMPUTE_PGM_RSRC2:TIDIG_COMP_CNT: 0
; COMPUTE_PGM_RSRC3_GFX90A:ACCUM_OFFSET: 5
; COMPUTE_PGM_RSRC3_GFX90A:TG_SPLIT: 0
	.section	.text._ZN2at4cuda17kernelHistogram1DIdalLi1ELi2ELin1ELNS0_23CUDAHistogramMemoryTypeE1EZNS0_21CUDA_tensor_histogramIdaLb1EEEbNS_6TensorES4_S4_lNS_14AccumulateTypeIT0_Lb1EE4typeES8_NS0_13TensorArgTypeES9_S9_EUllE_EEvNS0_6detail10TensorInfoIT_T1_EESF_NSC_IKS6_SE_EElS8_S8_SE_T6_,"axG",@progbits,_ZN2at4cuda17kernelHistogram1DIdalLi1ELi2ELin1ELNS0_23CUDAHistogramMemoryTypeE1EZNS0_21CUDA_tensor_histogramIdaLb1EEEbNS_6TensorES4_S4_lNS_14AccumulateTypeIT0_Lb1EE4typeES8_NS0_13TensorArgTypeES9_S9_EUllE_EEvNS0_6detail10TensorInfoIT_T1_EESF_NSC_IKS6_SE_EElS8_S8_SE_T6_,comdat
	.protected	_ZN2at4cuda17kernelHistogram1DIdalLi1ELi2ELin1ELNS0_23CUDAHistogramMemoryTypeE1EZNS0_21CUDA_tensor_histogramIdaLb1EEEbNS_6TensorES4_S4_lNS_14AccumulateTypeIT0_Lb1EE4typeES8_NS0_13TensorArgTypeES9_S9_EUllE_EEvNS0_6detail10TensorInfoIT_T1_EESF_NSC_IKS6_SE_EElS8_S8_SE_T6_ ; -- Begin function _ZN2at4cuda17kernelHistogram1DIdalLi1ELi2ELin1ELNS0_23CUDAHistogramMemoryTypeE1EZNS0_21CUDA_tensor_histogramIdaLb1EEEbNS_6TensorES4_S4_lNS_14AccumulateTypeIT0_Lb1EE4typeES8_NS0_13TensorArgTypeES9_S9_EUllE_EEvNS0_6detail10TensorInfoIT_T1_EESF_NSC_IKS6_SE_EElS8_S8_SE_T6_
	.globl	_ZN2at4cuda17kernelHistogram1DIdalLi1ELi2ELin1ELNS0_23CUDAHistogramMemoryTypeE1EZNS0_21CUDA_tensor_histogramIdaLb1EEEbNS_6TensorES4_S4_lNS_14AccumulateTypeIT0_Lb1EE4typeES8_NS0_13TensorArgTypeES9_S9_EUllE_EEvNS0_6detail10TensorInfoIT_T1_EESF_NSC_IKS6_SE_EElS8_S8_SE_T6_
	.p2align	8
	.type	_ZN2at4cuda17kernelHistogram1DIdalLi1ELi2ELin1ELNS0_23CUDAHistogramMemoryTypeE1EZNS0_21CUDA_tensor_histogramIdaLb1EEEbNS_6TensorES4_S4_lNS_14AccumulateTypeIT0_Lb1EE4typeES8_NS0_13TensorArgTypeES9_S9_EUllE_EEvNS0_6detail10TensorInfoIT_T1_EESF_NSC_IKS6_SE_EElS8_S8_SE_T6_,@function
_ZN2at4cuda17kernelHistogram1DIdalLi1ELi2ELin1ELNS0_23CUDAHistogramMemoryTypeE1EZNS0_21CUDA_tensor_histogramIdaLb1EEEbNS_6TensorES4_S4_lNS_14AccumulateTypeIT0_Lb1EE4typeES8_NS0_13TensorArgTypeES9_S9_EUllE_EEvNS0_6detail10TensorInfoIT_T1_EESF_NSC_IKS6_SE_EElS8_S8_SE_T6_: ; @_ZN2at4cuda17kernelHistogram1DIdalLi1ELi2ELin1ELNS0_23CUDAHistogramMemoryTypeE1EZNS0_21CUDA_tensor_histogramIdaLb1EEEbNS_6TensorES4_S4_lNS_14AccumulateTypeIT0_Lb1EE4typeES8_NS0_13TensorArgTypeES9_S9_EUllE_EEvNS0_6detail10TensorInfoIT_T1_EESF_NSC_IKS6_SE_EElS8_S8_SE_T6_
; %bb.0:
	s_load_dword s2, s[4:5], 0x6ac
	s_load_dwordx8 s[8:15], s[4:5], 0x4e0
	s_add_u32 s0, s4, 0x6a0
	s_addc_u32 s1, s5, 0
	v_mov_b32_e32 v2, 0
	s_waitcnt lgkmcnt(0)
	s_and_b32 s2, s2, 0xffff
	s_mul_i32 s6, s6, s2
	v_add_u32_e32 v0, s6, v0
	v_mov_b32_e32 v1, v2
	v_cmp_gt_i64_e32 vcc, s[14:15], v[0:1]
	s_and_saveexec_b64 s[6:7], vcc
	s_cbranch_execz .LBB21_16
; %bb.1:
	s_load_dwordx2 s[6:7], s[4:5], 0x5d0
	s_load_dwordx2 s[16:17], s[4:5], 0x500
	s_load_dword s3, s[4:5], 0x4d8
	s_load_dwordx2 s[18:19], s[4:5], 0x0
	s_load_dwordx2 s[20:21], s[4:5], 0xd0
	s_load_dword s28, s[0:1], 0x0
	s_add_u32 s26, s4, 0x340
	s_addc_u32 s27, s5, 0
	s_mov_b32 s42, 0
	s_waitcnt lgkmcnt(0)
	s_cmp_gt_i32 s3, 1
	s_cselect_b64 s[0:1], -1, 0
	s_sub_u32 s33, s12, s10
	s_subb_u32 s40, s13, s11
	s_mul_i32 s41, s28, s2
	s_add_i32 s43, s3, 1
	s_add_i32 s2, s3, -1
	s_mov_b32 s3, s42
	s_load_dwordx2 s[22:23], s[4:5], 0x410
	s_load_dwordx2 s[24:25], s[4:5], 0x340
	s_lshl_b64 s[2:3], s[2:3], 3
	s_add_u32 s2, s2, s26
	s_addc_u32 s3, s3, s27
	s_add_u32 s4, s2, 8
	v_cndmask_b32_e64 v3, 0, 1, s[0:1]
	s_addc_u32 s5, s3, 0
	s_mov_b64 s[26:27], 0
	v_cmp_ne_u32_e64 s[0:1], 1, v3
	s_branch .LBB21_4
.LBB21_2:                               ;   in Loop: Header=BB21_4 Depth=1
	s_or_b64 exec, exec, s[2:3]
	v_mul_lo_u32 v3, v1, s6
	v_mul_lo_u32 v7, v0, s7
	v_mad_u64_u32 v[4:5], s[2:3], v0, s6, 0
	v_add3_u32 v5, v5, v7, v3
	v_lshlrev_b64 v[4:5], 3, v[4:5]
	v_mov_b32_e32 v3, s17
	v_add_co_u32_e32 v4, vcc, s16, v4
	v_addc_co_u32_e32 v5, vcc, v3, v5, vcc
	global_load_dwordx2 v[4:5], v[4:5], off
	v_ashrrev_i32_e32 v7, 31, v6
	v_cmp_eq_u64_e32 vcc, s[8:9], v[6:7]
	v_cndmask_b32_e64 v3, 0, 1, vcc
	v_sub_co_u32_e32 v3, vcc, v6, v3
	v_subbrev_co_u32_e32 v6, vcc, 0, v7, vcc
	v_mul_lo_u32 v8, v6, s20
	v_mul_lo_u32 v9, v3, s21
	v_mad_u64_u32 v[6:7], s[2:3], v3, s20, 0
	v_add3_u32 v7, v7, v9, v8
	v_lshlrev_b64 v[6:7], 3, v[6:7]
	v_mov_b32_e32 v3, s19
	v_add_co_u32_e32 v6, vcc, s18, v6
	v_addc_co_u32_e32 v7, vcc, v3, v7, vcc
	s_waitcnt vmcnt(0)
	global_atomic_add_f64 v[6:7], v[4:5], off
.LBB21_3:                               ;   in Loop: Header=BB21_4 Depth=1
	s_or_b64 exec, exec, s[28:29]
	v_mov_b32_e32 v3, s42
	v_add_co_u32_e32 v0, vcc, s41, v0
	v_addc_co_u32_e32 v1, vcc, v1, v3, vcc
	v_cmp_le_i64_e32 vcc, s[14:15], v[0:1]
	s_or_b64 s[26:27], vcc, s[26:27]
	s_andn2_b64 exec, exec, s[26:27]
	s_cbranch_execz .LBB21_16
.LBB21_4:                               ; =>This Loop Header: Depth=1
                                        ;     Child Loop BB21_5 Depth 2
	s_and_b64 vcc, exec, s[0:1]
	v_pk_mov_b32 v[4:5], 0, 0
	s_mov_b64 s[28:29], s[4:5]
	s_mov_b32 s44, s43
	v_pk_mov_b32 v[6:7], v[0:1], v[0:1] op_sel:[0,1]
	v_pk_mov_b32 v[8:9], v[0:1], v[0:1] op_sel:[0,1]
	s_cbranch_vccnz .LBB21_11
.LBB21_5:                               ;   Parent Loop BB21_4 Depth=1
                                        ; =>  This Inner Loop Header: Depth=2
	s_load_dwordx2 s[30:31], s[28:29], 0x0
                                        ; implicit-def: $vgpr8_vgpr9
	s_waitcnt lgkmcnt(0)
	v_or_b32_e32 v3, s31, v7
	v_cmp_ne_u64_e32 vcc, 0, v[2:3]
	s_and_saveexec_b64 s[2:3], vcc
	s_xor_b64 s[34:35], exec, s[2:3]
	s_cbranch_execz .LBB21_7
; %bb.6:                                ;   in Loop: Header=BB21_5 Depth=2
	s_ashr_i32 s36, s31, 31
	s_add_u32 s2, s30, s36
	s_mov_b32 s37, s36
	s_addc_u32 s3, s31, s36
	s_xor_b64 s[38:39], s[2:3], s[36:37]
	v_cvt_f32_u32_e32 v3, s38
	v_cvt_f32_u32_e32 v8, s39
	s_sub_u32 s2, 0, s38
	s_subb_u32 s3, 0, s39
	v_mac_f32_e32 v3, 0x4f800000, v8
	v_rcp_f32_e32 v3, v3
	v_mul_f32_e32 v3, 0x5f7ffffc, v3
	v_mul_f32_e32 v8, 0x2f800000, v3
	v_trunc_f32_e32 v8, v8
	v_mac_f32_e32 v3, 0xcf800000, v8
	v_cvt_u32_f32_e32 v8, v8
	v_cvt_u32_f32_e32 v3, v3
	v_mul_lo_u32 v9, s2, v8
	v_mul_hi_u32 v11, s2, v3
	v_mul_lo_u32 v10, s3, v3
	v_add_u32_e32 v9, v11, v9
	v_mul_lo_u32 v12, s2, v3
	v_add_u32_e32 v9, v9, v10
	v_mul_lo_u32 v11, v3, v9
	v_mul_hi_u32 v13, v3, v12
	v_mul_hi_u32 v10, v3, v9
	v_add_co_u32_e32 v11, vcc, v13, v11
	v_addc_co_u32_e32 v10, vcc, 0, v10, vcc
	v_mul_hi_u32 v14, v8, v12
	v_mul_lo_u32 v12, v8, v12
	v_add_co_u32_e32 v11, vcc, v11, v12
	v_mul_hi_u32 v13, v8, v9
	v_addc_co_u32_e32 v10, vcc, v10, v14, vcc
	v_addc_co_u32_e32 v11, vcc, 0, v13, vcc
	v_mul_lo_u32 v9, v8, v9
	v_add_co_u32_e32 v9, vcc, v10, v9
	v_addc_co_u32_e32 v10, vcc, 0, v11, vcc
	v_add_co_u32_e32 v3, vcc, v3, v9
	v_addc_co_u32_e32 v8, vcc, v8, v10, vcc
	v_mul_lo_u32 v9, s2, v8
	v_mul_hi_u32 v10, s2, v3
	v_add_u32_e32 v9, v10, v9
	v_mul_lo_u32 v10, s3, v3
	v_add_u32_e32 v9, v9, v10
	v_mul_lo_u32 v11, s2, v3
	v_mul_hi_u32 v12, v8, v11
	v_mul_lo_u32 v13, v8, v11
	v_mul_lo_u32 v15, v3, v9
	v_mul_hi_u32 v11, v3, v11
	v_mul_hi_u32 v14, v3, v9
	v_add_co_u32_e32 v11, vcc, v11, v15
	v_addc_co_u32_e32 v14, vcc, 0, v14, vcc
	v_add_co_u32_e32 v11, vcc, v11, v13
	v_mul_hi_u32 v10, v8, v9
	v_addc_co_u32_e32 v11, vcc, v14, v12, vcc
	v_addc_co_u32_e32 v10, vcc, 0, v10, vcc
	v_mul_lo_u32 v9, v8, v9
	v_add_co_u32_e32 v9, vcc, v11, v9
	v_addc_co_u32_e32 v10, vcc, 0, v10, vcc
	v_add_co_u32_e32 v3, vcc, v3, v9
	v_addc_co_u32_e32 v10, vcc, v8, v10, vcc
	v_ashrrev_i32_e32 v12, 31, v7
	v_add_co_u32_e32 v8, vcc, v6, v12
	v_addc_co_u32_e32 v9, vcc, v7, v12, vcc
	v_xor_b32_e32 v14, v8, v12
	v_xor_b32_e32 v13, v9, v12
	v_mad_u64_u32 v[8:9], s[2:3], v14, v10, 0
	v_mul_hi_u32 v11, v14, v3
	v_add_co_u32_e32 v15, vcc, v11, v8
	v_addc_co_u32_e32 v16, vcc, 0, v9, vcc
	v_mad_u64_u32 v[8:9], s[2:3], v13, v10, 0
	v_mad_u64_u32 v[10:11], s[2:3], v13, v3, 0
	v_add_co_u32_e32 v3, vcc, v15, v10
	v_addc_co_u32_e32 v3, vcc, v16, v11, vcc
	v_addc_co_u32_e32 v9, vcc, 0, v9, vcc
	v_add_co_u32_e32 v3, vcc, v3, v8
	v_addc_co_u32_e32 v10, vcc, 0, v9, vcc
	v_mul_lo_u32 v11, s39, v3
	v_mul_lo_u32 v15, s38, v10
	v_mad_u64_u32 v[8:9], s[2:3], s38, v3, 0
	v_add3_u32 v9, v9, v15, v11
	v_sub_u32_e32 v11, v13, v9
	v_mov_b32_e32 v15, s39
	v_sub_co_u32_e32 v8, vcc, v14, v8
	v_subb_co_u32_e64 v11, s[2:3], v11, v15, vcc
	v_subrev_co_u32_e64 v14, s[2:3], s38, v8
	v_subbrev_co_u32_e64 v11, s[2:3], 0, v11, s[2:3]
	v_cmp_le_u32_e64 s[2:3], s39, v11
	v_cndmask_b32_e64 v15, 0, -1, s[2:3]
	v_cmp_le_u32_e64 s[2:3], s38, v14
	v_cndmask_b32_e64 v14, 0, -1, s[2:3]
	v_cmp_eq_u32_e64 s[2:3], s39, v11
	v_cndmask_b32_e64 v11, v15, v14, s[2:3]
	v_add_co_u32_e64 v14, s[2:3], 2, v3
	v_subb_co_u32_e32 v9, vcc, v13, v9, vcc
	v_addc_co_u32_e64 v15, s[2:3], 0, v10, s[2:3]
	v_cmp_le_u32_e32 vcc, s39, v9
	v_add_co_u32_e64 v16, s[2:3], 1, v3
	v_cndmask_b32_e64 v13, 0, -1, vcc
	v_cmp_le_u32_e32 vcc, s38, v8
	v_addc_co_u32_e64 v17, s[2:3], 0, v10, s[2:3]
	v_cndmask_b32_e64 v8, 0, -1, vcc
	v_cmp_eq_u32_e32 vcc, s39, v9
	v_cmp_ne_u32_e64 s[2:3], 0, v11
	v_cndmask_b32_e32 v8, v13, v8, vcc
	v_cmp_ne_u32_e32 vcc, 0, v8
	v_cndmask_b32_e64 v9, v16, v14, s[2:3]
	v_cndmask_b32_e64 v11, v17, v15, s[2:3]
	v_cndmask_b32_e32 v3, v3, v9, vcc
	v_xor_b32_e32 v9, s36, v12
	v_cndmask_b32_e32 v8, v10, v11, vcc
	v_xor_b32_e32 v3, v3, v9
	v_xor_b32_e32 v10, v8, v9
	v_sub_co_u32_e32 v8, vcc, v3, v9
	v_subb_co_u32_e32 v9, vcc, v10, v9, vcc
.LBB21_7:                               ;   in Loop: Header=BB21_5 Depth=2
	s_andn2_saveexec_b64 s[2:3], s[34:35]
	s_cbranch_execz .LBB21_9
; %bb.8:                                ;   in Loop: Header=BB21_5 Depth=2
	v_cvt_f32_u32_e32 v3, s30
	s_sub_i32 s34, 0, s30
	v_rcp_iflag_f32_e32 v3, v3
	v_mul_f32_e32 v3, 0x4f7ffffe, v3
	v_cvt_u32_f32_e32 v3, v3
	v_mul_lo_u32 v8, s34, v3
	v_mul_hi_u32 v8, v3, v8
	v_add_u32_e32 v3, v3, v8
	v_mul_hi_u32 v3, v6, v3
	v_mul_lo_u32 v8, v3, s30
	v_sub_u32_e32 v8, v6, v8
	v_add_u32_e32 v9, 1, v3
	v_subrev_u32_e32 v10, s30, v8
	v_cmp_le_u32_e32 vcc, s30, v8
	v_cndmask_b32_e32 v8, v8, v10, vcc
	v_cndmask_b32_e32 v3, v3, v9, vcc
	v_add_u32_e32 v9, 1, v3
	v_cmp_le_u32_e32 vcc, s30, v8
	v_cndmask_b32_e32 v8, v3, v9, vcc
	v_mov_b32_e32 v9, v2
.LBB21_9:                               ;   in Loop: Header=BB21_5 Depth=2
	s_or_b64 exec, exec, s[2:3]
	v_mad_u64_u32 v[10:11], s[2:3], v8, s30, 0
	s_load_dwordx2 s[2:3], s[28:29], 0xc8
	v_mul_lo_u32 v3, v9, s30
	v_mul_lo_u32 v12, v8, s31
	v_add3_u32 v3, v11, v12, v3
	v_sub_co_u32_e32 v6, vcc, v6, v10
	s_add_i32 s44, s44, -1
	v_subb_co_u32_e32 v3, vcc, v7, v3, vcc
	s_add_u32 s28, s28, -8
	s_waitcnt lgkmcnt(0)
	v_mul_lo_u32 v3, s2, v3
	v_mul_lo_u32 v7, s3, v6
	v_mad_u64_u32 v[4:5], s[2:3], s2, v6, v[4:5]
	s_addc_u32 s29, s29, -1
	s_cmp_gt_u32 s44, 2
	v_add3_u32 v5, v7, v5, v3
	s_cbranch_scc0 .LBB21_11
; %bb.10:                               ;   in Loop: Header=BB21_5 Depth=2
	v_pk_mov_b32 v[6:7], v[8:9], v[8:9] op_sel:[0,1]
	s_branch .LBB21_5
.LBB21_11:                              ;   in Loop: Header=BB21_4 Depth=1
	s_waitcnt lgkmcnt(0)
	v_pk_mov_b32 v[6:7], s[24:25], s[24:25] op_sel:[0,1]
	v_mad_u64_u32 v[6:7], s[2:3], s22, v8, v[6:7]
	v_mul_lo_u32 v3, s22, v9
	v_mul_lo_u32 v8, s23, v8
	v_add3_u32 v3, v8, v7, v3
	v_add_co_u32_e32 v4, vcc, v6, v4
	v_addc_co_u32_e32 v5, vcc, v3, v5, vcc
	global_load_sbyte v3, v[4:5], off
	s_waitcnt vmcnt(0)
	v_bfe_i32 v4, v3, 0, 16
	v_ashrrev_i32_e32 v5, 31, v4
	v_cmp_le_i64_e32 vcc, s[10:11], v[4:5]
	v_cmp_ge_i64_e64 s[2:3], s[12:13], v[4:5]
	s_and_b64 s[2:3], vcc, s[2:3]
	s_and_saveexec_b64 s[28:29], s[2:3]
	s_cbranch_execz .LBB21_3
; %bb.12:                               ;   in Loop: Header=BB21_4 Depth=1
	v_mov_b32_e32 v3, s11
	v_subrev_co_u32_e32 v4, vcc, s10, v4
	v_subb_co_u32_e32 v3, vcc, v5, v3, vcc
	v_mul_lo_u32 v3, v3, s8
	v_mul_lo_u32 v6, v4, s9
	v_mad_u64_u32 v[4:5], s[2:3], v4, s8, 0
	v_add3_u32 v5, v5, v6, v3
	v_or_b32_e32 v3, s40, v5
	v_cmp_ne_u64_e32 vcc, 0, v[2:3]
                                        ; implicit-def: $vgpr6_vgpr7
	s_and_saveexec_b64 s[2:3], vcc
	s_xor_b64 s[30:31], exec, s[2:3]
	s_cbranch_execz .LBB21_14
; %bb.13:                               ;   in Loop: Header=BB21_4 Depth=1
	s_ashr_i32 s34, s40, 31
	s_add_u32 s2, s33, s34
	s_mov_b32 s35, s34
	s_addc_u32 s3, s40, s34
	s_xor_b64 s[36:37], s[2:3], s[34:35]
	v_cvt_f32_u32_e32 v3, s36
	v_cvt_f32_u32_e32 v6, s37
	s_sub_u32 s2, 0, s36
	s_subb_u32 s3, 0, s37
	v_mac_f32_e32 v3, 0x4f800000, v6
	v_rcp_f32_e32 v3, v3
	v_mul_f32_e32 v3, 0x5f7ffffc, v3
	v_mul_f32_e32 v6, 0x2f800000, v3
	v_trunc_f32_e32 v6, v6
	v_mac_f32_e32 v3, 0xcf800000, v6
	v_cvt_u32_f32_e32 v6, v6
	v_cvt_u32_f32_e32 v3, v3
	v_mul_lo_u32 v7, s2, v6
	v_mul_hi_u32 v9, s2, v3
	v_mul_lo_u32 v8, s3, v3
	v_add_u32_e32 v7, v9, v7
	v_mul_lo_u32 v10, s2, v3
	v_add_u32_e32 v7, v7, v8
	v_mul_lo_u32 v9, v3, v7
	v_mul_hi_u32 v11, v3, v10
	v_mul_hi_u32 v8, v3, v7
	v_add_co_u32_e32 v9, vcc, v11, v9
	v_addc_co_u32_e32 v8, vcc, 0, v8, vcc
	v_mul_hi_u32 v12, v6, v10
	v_mul_lo_u32 v10, v6, v10
	v_add_co_u32_e32 v9, vcc, v9, v10
	v_mul_hi_u32 v11, v6, v7
	v_addc_co_u32_e32 v8, vcc, v8, v12, vcc
	v_addc_co_u32_e32 v9, vcc, 0, v11, vcc
	v_mul_lo_u32 v7, v6, v7
	v_add_co_u32_e32 v7, vcc, v8, v7
	v_addc_co_u32_e32 v8, vcc, 0, v9, vcc
	v_add_co_u32_e32 v3, vcc, v3, v7
	v_addc_co_u32_e32 v6, vcc, v6, v8, vcc
	v_mul_lo_u32 v7, s2, v6
	v_mul_hi_u32 v8, s2, v3
	v_add_u32_e32 v7, v8, v7
	v_mul_lo_u32 v8, s3, v3
	v_add_u32_e32 v7, v7, v8
	v_mul_lo_u32 v9, s2, v3
	v_mul_hi_u32 v10, v6, v9
	v_mul_lo_u32 v11, v6, v9
	v_mul_lo_u32 v13, v3, v7
	v_mul_hi_u32 v9, v3, v9
	v_mul_hi_u32 v12, v3, v7
	v_add_co_u32_e32 v9, vcc, v9, v13
	v_addc_co_u32_e32 v12, vcc, 0, v12, vcc
	v_add_co_u32_e32 v9, vcc, v9, v11
	v_mul_hi_u32 v8, v6, v7
	v_addc_co_u32_e32 v9, vcc, v12, v10, vcc
	v_addc_co_u32_e32 v8, vcc, 0, v8, vcc
	v_mul_lo_u32 v7, v6, v7
	v_add_co_u32_e32 v7, vcc, v9, v7
	v_addc_co_u32_e32 v8, vcc, 0, v8, vcc
	v_add_co_u32_e32 v3, vcc, v3, v7
	v_addc_co_u32_e32 v6, vcc, v6, v8, vcc
	v_ashrrev_i32_e32 v8, 31, v5
	v_add_co_u32_e32 v4, vcc, v4, v8
	v_addc_co_u32_e32 v5, vcc, v5, v8, vcc
	v_xor_b32_e32 v10, v4, v8
	v_xor_b32_e32 v9, v5, v8
	v_mad_u64_u32 v[4:5], s[2:3], v10, v6, 0
	v_mul_hi_u32 v7, v10, v3
	v_add_co_u32_e32 v11, vcc, v7, v4
	v_addc_co_u32_e32 v12, vcc, 0, v5, vcc
	v_mad_u64_u32 v[4:5], s[2:3], v9, v6, 0
	v_mad_u64_u32 v[6:7], s[2:3], v9, v3, 0
	v_add_co_u32_e32 v3, vcc, v11, v6
	v_addc_co_u32_e32 v3, vcc, v12, v7, vcc
	v_addc_co_u32_e32 v5, vcc, 0, v5, vcc
	v_add_co_u32_e32 v3, vcc, v3, v4
	v_addc_co_u32_e32 v4, vcc, 0, v5, vcc
	v_mul_lo_u32 v6, s37, v3
	v_mul_lo_u32 v7, s36, v4
	v_mad_u64_u32 v[4:5], s[2:3], s36, v3, 0
	v_add3_u32 v5, v5, v7, v6
	v_sub_u32_e32 v6, v9, v5
	v_mov_b32_e32 v7, s37
	v_sub_co_u32_e32 v4, vcc, v10, v4
	v_subb_co_u32_e64 v6, s[2:3], v6, v7, vcc
	v_subrev_co_u32_e64 v7, s[2:3], s36, v4
	v_subbrev_co_u32_e64 v6, s[2:3], 0, v6, s[2:3]
	v_cmp_le_u32_e64 s[2:3], s37, v6
	v_subb_co_u32_e32 v5, vcc, v9, v5, vcc
	v_cndmask_b32_e64 v10, 0, -1, s[2:3]
	v_cmp_le_u32_e64 s[2:3], s36, v7
	v_cmp_le_u32_e32 vcc, s37, v5
	v_cndmask_b32_e64 v7, 0, -1, s[2:3]
	v_cmp_eq_u32_e64 s[2:3], s37, v6
	v_cndmask_b32_e64 v9, 0, -1, vcc
	v_cmp_le_u32_e32 vcc, s36, v4
	v_cndmask_b32_e64 v6, v10, v7, s[2:3]
	v_cndmask_b32_e64 v4, 0, -1, vcc
	v_cmp_eq_u32_e32 vcc, s37, v5
	v_add_co_u32_e64 v7, s[2:3], 2, v3
	v_add_co_u32_e64 v10, s[2:3], 1, v3
	v_cndmask_b32_e32 v4, v9, v4, vcc
	v_cmp_ne_u32_e32 vcc, 0, v6
	v_cndmask_b32_e32 v5, v10, v7, vcc
	v_cmp_ne_u32_e32 vcc, 0, v4
	v_cndmask_b32_e32 v3, v3, v5, vcc
	v_xor_b32_e32 v4, s34, v8
	v_xor_b32_e32 v3, v3, v4
	v_sub_co_u32_e32 v6, vcc, v3, v4
                                        ; implicit-def: $vgpr4_vgpr5
.LBB21_14:                              ;   in Loop: Header=BB21_4 Depth=1
	s_andn2_saveexec_b64 s[2:3], s[30:31]
	s_cbranch_execz .LBB21_2
; %bb.15:                               ;   in Loop: Header=BB21_4 Depth=1
	v_cvt_f32_u32_e32 v3, s33
	s_sub_i32 s30, 0, s33
	v_rcp_iflag_f32_e32 v3, v3
	v_mul_f32_e32 v3, 0x4f7ffffe, v3
	v_cvt_u32_f32_e32 v3, v3
	v_mul_lo_u32 v5, s30, v3
	v_mul_hi_u32 v5, v3, v5
	v_add_u32_e32 v3, v3, v5
	v_mul_hi_u32 v3, v4, v3
	v_mul_lo_u32 v5, v3, s33
	v_sub_u32_e32 v4, v4, v5
	v_add_u32_e32 v6, 1, v3
	v_subrev_u32_e32 v5, s33, v4
	v_cmp_le_u32_e32 vcc, s33, v4
	v_cndmask_b32_e32 v4, v4, v5, vcc
	v_cndmask_b32_e32 v3, v3, v6, vcc
	v_add_u32_e32 v5, 1, v3
	v_cmp_le_u32_e32 vcc, s33, v4
	v_cndmask_b32_e32 v6, v3, v5, vcc
	s_branch .LBB21_2
.LBB21_16:
	s_endpgm
	.section	.rodata,"a",@progbits
	.p2align	6, 0x0
	.amdhsa_kernel _ZN2at4cuda17kernelHistogram1DIdalLi1ELi2ELin1ELNS0_23CUDAHistogramMemoryTypeE1EZNS0_21CUDA_tensor_histogramIdaLb1EEEbNS_6TensorES4_S4_lNS_14AccumulateTypeIT0_Lb1EE4typeES8_NS0_13TensorArgTypeES9_S9_EUllE_EEvNS0_6detail10TensorInfoIT_T1_EESF_NSC_IKS6_SE_EElS8_S8_SE_T6_
		.amdhsa_group_segment_fixed_size 0
		.amdhsa_private_segment_fixed_size 0
		.amdhsa_kernarg_size 1952
		.amdhsa_user_sgpr_count 6
		.amdhsa_user_sgpr_private_segment_buffer 1
		.amdhsa_user_sgpr_dispatch_ptr 0
		.amdhsa_user_sgpr_queue_ptr 0
		.amdhsa_user_sgpr_kernarg_segment_ptr 1
		.amdhsa_user_sgpr_dispatch_id 0
		.amdhsa_user_sgpr_flat_scratch_init 0
		.amdhsa_user_sgpr_kernarg_preload_length 0
		.amdhsa_user_sgpr_kernarg_preload_offset 0
		.amdhsa_user_sgpr_private_segment_size 0
		.amdhsa_uses_dynamic_stack 0
		.amdhsa_system_sgpr_private_segment_wavefront_offset 0
		.amdhsa_system_sgpr_workgroup_id_x 1
		.amdhsa_system_sgpr_workgroup_id_y 0
		.amdhsa_system_sgpr_workgroup_id_z 0
		.amdhsa_system_sgpr_workgroup_info 0
		.amdhsa_system_vgpr_workitem_id 0
		.amdhsa_next_free_vgpr 18
		.amdhsa_next_free_sgpr 45
		.amdhsa_accum_offset 20
		.amdhsa_reserve_vcc 1
		.amdhsa_reserve_flat_scratch 0
		.amdhsa_float_round_mode_32 0
		.amdhsa_float_round_mode_16_64 0
		.amdhsa_float_denorm_mode_32 3
		.amdhsa_float_denorm_mode_16_64 3
		.amdhsa_dx10_clamp 1
		.amdhsa_ieee_mode 1
		.amdhsa_fp16_overflow 0
		.amdhsa_tg_split 0
		.amdhsa_exception_fp_ieee_invalid_op 0
		.amdhsa_exception_fp_denorm_src 0
		.amdhsa_exception_fp_ieee_div_zero 0
		.amdhsa_exception_fp_ieee_overflow 0
		.amdhsa_exception_fp_ieee_underflow 0
		.amdhsa_exception_fp_ieee_inexact 0
		.amdhsa_exception_int_div_zero 0
	.end_amdhsa_kernel
	.section	.text._ZN2at4cuda17kernelHistogram1DIdalLi1ELi2ELin1ELNS0_23CUDAHistogramMemoryTypeE1EZNS0_21CUDA_tensor_histogramIdaLb1EEEbNS_6TensorES4_S4_lNS_14AccumulateTypeIT0_Lb1EE4typeES8_NS0_13TensorArgTypeES9_S9_EUllE_EEvNS0_6detail10TensorInfoIT_T1_EESF_NSC_IKS6_SE_EElS8_S8_SE_T6_,"axG",@progbits,_ZN2at4cuda17kernelHistogram1DIdalLi1ELi2ELin1ELNS0_23CUDAHistogramMemoryTypeE1EZNS0_21CUDA_tensor_histogramIdaLb1EEEbNS_6TensorES4_S4_lNS_14AccumulateTypeIT0_Lb1EE4typeES8_NS0_13TensorArgTypeES9_S9_EUllE_EEvNS0_6detail10TensorInfoIT_T1_EESF_NSC_IKS6_SE_EElS8_S8_SE_T6_,comdat
.Lfunc_end21:
	.size	_ZN2at4cuda17kernelHistogram1DIdalLi1ELi2ELin1ELNS0_23CUDAHistogramMemoryTypeE1EZNS0_21CUDA_tensor_histogramIdaLb1EEEbNS_6TensorES4_S4_lNS_14AccumulateTypeIT0_Lb1EE4typeES8_NS0_13TensorArgTypeES9_S9_EUllE_EEvNS0_6detail10TensorInfoIT_T1_EESF_NSC_IKS6_SE_EElS8_S8_SE_T6_, .Lfunc_end21-_ZN2at4cuda17kernelHistogram1DIdalLi1ELi2ELin1ELNS0_23CUDAHistogramMemoryTypeE1EZNS0_21CUDA_tensor_histogramIdaLb1EEEbNS_6TensorES4_S4_lNS_14AccumulateTypeIT0_Lb1EE4typeES8_NS0_13TensorArgTypeES9_S9_EUllE_EEvNS0_6detail10TensorInfoIT_T1_EESF_NSC_IKS6_SE_EElS8_S8_SE_T6_
                                        ; -- End function
	.section	.AMDGPU.csdata,"",@progbits
; Kernel info:
; codeLenInByte = 2280
; NumSgprs: 49
; NumVgprs: 18
; NumAgprs: 0
; TotalNumVgprs: 18
; ScratchSize: 0
; MemoryBound: 0
; FloatMode: 240
; IeeeMode: 1
; LDSByteSize: 0 bytes/workgroup (compile time only)
; SGPRBlocks: 6
; VGPRBlocks: 2
; NumSGPRsForWavesPerEU: 49
; NumVGPRsForWavesPerEU: 18
; AccumOffset: 20
; Occupancy: 8
; WaveLimiterHint : 1
; COMPUTE_PGM_RSRC2:SCRATCH_EN: 0
; COMPUTE_PGM_RSRC2:USER_SGPR: 6
; COMPUTE_PGM_RSRC2:TRAP_HANDLER: 0
; COMPUTE_PGM_RSRC2:TGID_X_EN: 1
; COMPUTE_PGM_RSRC2:TGID_Y_EN: 0
; COMPUTE_PGM_RSRC2:TGID_Z_EN: 0
; COMPUTE_PGM_RSRC2:TIDIG_COMP_CNT: 0
; COMPUTE_PGM_RSRC3_GFX90A:ACCUM_OFFSET: 4
; COMPUTE_PGM_RSRC3_GFX90A:TG_SPLIT: 0
	.section	.text._ZN2at4cuda17kernelHistogram1DIdalLi1ELi2ELin1ELNS0_23CUDAHistogramMemoryTypeE0EZNS0_21CUDA_tensor_histogramIdaLb1EEEbNS_6TensorES4_S4_lNS_14AccumulateTypeIT0_Lb1EE4typeES8_NS0_13TensorArgTypeES9_S9_EUllE0_EEvNS0_6detail10TensorInfoIT_T1_EESF_NSC_IKS6_SE_EElS8_S8_SE_T6_,"axG",@progbits,_ZN2at4cuda17kernelHistogram1DIdalLi1ELi2ELin1ELNS0_23CUDAHistogramMemoryTypeE0EZNS0_21CUDA_tensor_histogramIdaLb1EEEbNS_6TensorES4_S4_lNS_14AccumulateTypeIT0_Lb1EE4typeES8_NS0_13TensorArgTypeES9_S9_EUllE0_EEvNS0_6detail10TensorInfoIT_T1_EESF_NSC_IKS6_SE_EElS8_S8_SE_T6_,comdat
	.protected	_ZN2at4cuda17kernelHistogram1DIdalLi1ELi2ELin1ELNS0_23CUDAHistogramMemoryTypeE0EZNS0_21CUDA_tensor_histogramIdaLb1EEEbNS_6TensorES4_S4_lNS_14AccumulateTypeIT0_Lb1EE4typeES8_NS0_13TensorArgTypeES9_S9_EUllE0_EEvNS0_6detail10TensorInfoIT_T1_EESF_NSC_IKS6_SE_EElS8_S8_SE_T6_ ; -- Begin function _ZN2at4cuda17kernelHistogram1DIdalLi1ELi2ELin1ELNS0_23CUDAHistogramMemoryTypeE0EZNS0_21CUDA_tensor_histogramIdaLb1EEEbNS_6TensorES4_S4_lNS_14AccumulateTypeIT0_Lb1EE4typeES8_NS0_13TensorArgTypeES9_S9_EUllE0_EEvNS0_6detail10TensorInfoIT_T1_EESF_NSC_IKS6_SE_EElS8_S8_SE_T6_
	.globl	_ZN2at4cuda17kernelHistogram1DIdalLi1ELi2ELin1ELNS0_23CUDAHistogramMemoryTypeE0EZNS0_21CUDA_tensor_histogramIdaLb1EEEbNS_6TensorES4_S4_lNS_14AccumulateTypeIT0_Lb1EE4typeES8_NS0_13TensorArgTypeES9_S9_EUllE0_EEvNS0_6detail10TensorInfoIT_T1_EESF_NSC_IKS6_SE_EElS8_S8_SE_T6_
	.p2align	8
	.type	_ZN2at4cuda17kernelHistogram1DIdalLi1ELi2ELin1ELNS0_23CUDAHistogramMemoryTypeE0EZNS0_21CUDA_tensor_histogramIdaLb1EEEbNS_6TensorES4_S4_lNS_14AccumulateTypeIT0_Lb1EE4typeES8_NS0_13TensorArgTypeES9_S9_EUllE0_EEvNS0_6detail10TensorInfoIT_T1_EESF_NSC_IKS6_SE_EElS8_S8_SE_T6_,@function
_ZN2at4cuda17kernelHistogram1DIdalLi1ELi2ELin1ELNS0_23CUDAHistogramMemoryTypeE0EZNS0_21CUDA_tensor_histogramIdaLb1EEEbNS_6TensorES4_S4_lNS_14AccumulateTypeIT0_Lb1EE4typeES8_NS0_13TensorArgTypeES9_S9_EUllE0_EEvNS0_6detail10TensorInfoIT_T1_EESF_NSC_IKS6_SE_EElS8_S8_SE_T6_: ; @_ZN2at4cuda17kernelHistogram1DIdalLi1ELi2ELin1ELNS0_23CUDAHistogramMemoryTypeE0EZNS0_21CUDA_tensor_histogramIdaLb1EEEbNS_6TensorES4_S4_lNS_14AccumulateTypeIT0_Lb1EE4typeES8_NS0_13TensorArgTypeES9_S9_EUllE0_EEvNS0_6detail10TensorInfoIT_T1_EESF_NSC_IKS6_SE_EElS8_S8_SE_T6_
; %bb.0:
	s_load_dwordx4 s[16:19], s[4:5], 0x0
	v_mov_b32_e32 v1, 0
	s_add_u32 s2, s4, 0x508
	s_addc_u32 s3, s5, 0
                                        ; implicit-def: $sgpr7
                                        ; implicit-def: $sgpr10
	s_waitcnt lgkmcnt(0)
	v_cmp_gt_i64_e64 s[0:1], s[18:19], v[0:1]
	v_cmp_le_i64_e32 vcc, s[18:19], v[0:1]
	s_and_saveexec_b64 s[8:9], vcc
	s_xor_b64 s[8:9], exec, s[8:9]
	s_cbranch_execz .LBB22_2
; %bb.1:
	s_load_dword s7, s[2:3], 0xc
	s_waitcnt lgkmcnt(0)
	s_and_b32 s10, s7, 0xffff
.LBB22_2:
	s_or_saveexec_b64 s[8:9], s[8:9]
	s_load_dwordx2 s[20:21], s[4:5], 0xd0
	v_mov_b32_e32 v7, s7
	v_mov_b32_e32 v15, s10
	v_lshl_add_u32 v14, v0, 3, 0
	s_xor_b64 exec, exec, s[8:9]
	s_cbranch_execz .LBB22_6
; %bb.3:
	s_load_dword s7, s[2:3], 0xc
	s_mov_b32 s14, 0
	v_mov_b32_e32 v2, 0
	v_lshl_add_u32 v6, v0, 3, 0
	s_mov_b64 s[10:11], 0
	s_waitcnt lgkmcnt(0)
	s_and_b32 s12, s7, 0xffff
	s_lshl_b32 s13, s12, 3
	v_mov_b32_e32 v3, v2
	v_mov_b32_e32 v7, s14
	v_pk_mov_b32 v[4:5], v[0:1], v[0:1] op_sel:[0,1]
.LBB22_4:                               ; =>This Inner Loop Header: Depth=1
	v_add_co_u32_e32 v4, vcc, s12, v4
	v_addc_co_u32_e32 v5, vcc, v5, v7, vcc
	v_cmp_le_i64_e32 vcc, s[18:19], v[4:5]
	ds_write_b64 v6, v[2:3]
	s_or_b64 s[10:11], vcc, s[10:11]
	v_add_u32_e32 v6, s13, v6
	s_andn2_b64 exec, exec, s[10:11]
	s_cbranch_execnz .LBB22_4
; %bb.5:
	s_or_b64 exec, exec, s[10:11]
	v_mov_b32_e32 v7, s7
	v_mov_b32_e32 v15, s12
.LBB22_6:
	s_or_b64 exec, exec, s[8:9]
	s_load_dwordx8 s[8:15], s[4:5], 0x4e0
	v_mad_u64_u32 v[2:3], s[6:7], s6, v15, v[0:1]
	v_mov_b32_e32 v4, 0
	v_mov_b32_e32 v3, v4
	s_waitcnt lgkmcnt(0)
	v_cmp_gt_i64_e32 vcc, s[14:15], v[2:3]
	s_barrier
	s_and_saveexec_b64 s[6:7], vcc
	s_cbranch_execz .LBB22_22
; %bb.7:
	s_load_dword s26, s[4:5], 0x4d8
	s_load_dwordx2 s[22:23], s[4:5], 0x410
	s_load_dwordx2 s[24:25], s[4:5], 0x340
	s_add_u32 s27, s4, 0x340
	s_addc_u32 s29, s5, 0
	s_waitcnt lgkmcnt(0)
	s_cmp_gt_i32 s26, 1
	s_load_dword s28, s[2:3], 0x0
	s_cselect_b64 s[2:3], -1, 0
	s_sub_u32 s33, s12, s10
	s_subb_u32 s44, s13, s11
	s_mov_b32 s5, 0
	s_add_i32 s4, s26, -1
	s_add_i32 s45, s26, 1
	s_lshl_b64 s[4:5], s[4:5], 3
	s_add_u32 s4, s4, s27
	s_addc_u32 s5, s5, s29
	s_add_u32 s26, s4, 8
	v_cndmask_b32_e64 v5, 0, 1, s[2:3]
	s_waitcnt lgkmcnt(0)
	v_mul_lo_u32 v6, s28, v15
	s_addc_u32 s27, s5, 0
	s_mov_b64 s[28:29], 0
	v_cmp_ne_u32_e64 s[2:3], 1, v5
	s_mov_b64 s[30:31], src_shared_base
	s_branch .LBB22_10
.LBB22_8:                               ;   in Loop: Header=BB22_10 Depth=1
	s_or_b64 exec, exec, s[4:5]
	v_ashrrev_i32_e32 v11, 31, v10
	v_cmp_eq_u64_e32 vcc, s[8:9], v[10:11]
	v_subbrev_co_u32_e32 v5, vcc, 0, v10, vcc
	v_mov_b32_e32 v10, 0
	v_lshl_add_u32 v8, v5, 3, 0
	v_mov_b32_e32 v9, s31
	v_mov_b32_e32 v11, 0x3ff00000
	flat_atomic_add_f64 v[8:9], v[10:11]
.LBB22_9:                               ;   in Loop: Header=BB22_10 Depth=1
	s_or_b64 exec, exec, s[34:35]
	v_add_co_u32_e32 v2, vcc, v2, v6
	v_addc_co_u32_e32 v3, vcc, 0, v3, vcc
	v_cmp_le_i64_e32 vcc, s[14:15], v[2:3]
	s_or_b64 s[28:29], vcc, s[28:29]
	s_andn2_b64 exec, exec, s[28:29]
	s_cbranch_execz .LBB22_22
.LBB22_10:                              ; =>This Loop Header: Depth=1
                                        ;     Child Loop BB22_11 Depth 2
	s_and_b64 vcc, exec, s[2:3]
	v_pk_mov_b32 v[8:9], 0, 0
	s_mov_b64 s[34:35], s[26:27]
	s_mov_b32 s30, s45
	v_pk_mov_b32 v[10:11], v[2:3], v[2:3] op_sel:[0,1]
	v_pk_mov_b32 v[12:13], v[2:3], v[2:3] op_sel:[0,1]
	s_cbranch_vccnz .LBB22_17
.LBB22_11:                              ;   Parent Loop BB22_10 Depth=1
                                        ; =>  This Inner Loop Header: Depth=2
	s_load_dwordx2 s[36:37], s[34:35], 0x0
                                        ; implicit-def: $vgpr12_vgpr13
	s_waitcnt lgkmcnt(0)
	v_or_b32_e32 v5, s37, v11
	v_cmp_ne_u64_e32 vcc, 0, v[4:5]
	s_and_saveexec_b64 s[4:5], vcc
	s_xor_b64 s[38:39], exec, s[4:5]
	s_cbranch_execz .LBB22_13
; %bb.12:                               ;   in Loop: Header=BB22_11 Depth=2
	s_ashr_i32 s40, s37, 31
	s_add_u32 s4, s36, s40
	s_mov_b32 s41, s40
	s_addc_u32 s5, s37, s40
	s_xor_b64 s[42:43], s[4:5], s[40:41]
	v_cvt_f32_u32_e32 v5, s42
	v_cvt_f32_u32_e32 v12, s43
	s_sub_u32 s4, 0, s42
	s_subb_u32 s5, 0, s43
	v_mac_f32_e32 v5, 0x4f800000, v12
	v_rcp_f32_e32 v5, v5
	v_mul_f32_e32 v5, 0x5f7ffffc, v5
	v_mul_f32_e32 v12, 0x2f800000, v5
	v_trunc_f32_e32 v12, v12
	v_mac_f32_e32 v5, 0xcf800000, v12
	v_cvt_u32_f32_e32 v12, v12
	v_cvt_u32_f32_e32 v5, v5
	v_mul_lo_u32 v13, s4, v12
	v_mul_hi_u32 v17, s4, v5
	v_mul_lo_u32 v16, s5, v5
	v_add_u32_e32 v13, v17, v13
	v_mul_lo_u32 v18, s4, v5
	v_add_u32_e32 v13, v13, v16
	v_mul_lo_u32 v17, v5, v13
	v_mul_hi_u32 v19, v5, v18
	v_mul_hi_u32 v16, v5, v13
	v_add_co_u32_e32 v17, vcc, v19, v17
	v_addc_co_u32_e32 v16, vcc, 0, v16, vcc
	v_mul_hi_u32 v20, v12, v18
	v_mul_lo_u32 v18, v12, v18
	v_add_co_u32_e32 v17, vcc, v17, v18
	v_mul_hi_u32 v19, v12, v13
	v_addc_co_u32_e32 v16, vcc, v16, v20, vcc
	v_addc_co_u32_e32 v17, vcc, 0, v19, vcc
	v_mul_lo_u32 v13, v12, v13
	v_add_co_u32_e32 v13, vcc, v16, v13
	v_addc_co_u32_e32 v16, vcc, 0, v17, vcc
	v_add_co_u32_e32 v5, vcc, v5, v13
	v_addc_co_u32_e32 v12, vcc, v12, v16, vcc
	v_mul_lo_u32 v13, s4, v12
	v_mul_hi_u32 v16, s4, v5
	v_add_u32_e32 v13, v16, v13
	v_mul_lo_u32 v16, s5, v5
	v_add_u32_e32 v13, v13, v16
	v_mul_lo_u32 v17, s4, v5
	v_mul_hi_u32 v18, v12, v17
	v_mul_lo_u32 v19, v12, v17
	v_mul_lo_u32 v21, v5, v13
	v_mul_hi_u32 v17, v5, v17
	v_mul_hi_u32 v20, v5, v13
	v_add_co_u32_e32 v17, vcc, v17, v21
	v_addc_co_u32_e32 v20, vcc, 0, v20, vcc
	v_add_co_u32_e32 v17, vcc, v17, v19
	v_mul_hi_u32 v16, v12, v13
	v_addc_co_u32_e32 v17, vcc, v20, v18, vcc
	v_addc_co_u32_e32 v16, vcc, 0, v16, vcc
	v_mul_lo_u32 v13, v12, v13
	v_add_co_u32_e32 v13, vcc, v17, v13
	v_addc_co_u32_e32 v16, vcc, 0, v16, vcc
	v_add_co_u32_e32 v5, vcc, v5, v13
	v_addc_co_u32_e32 v16, vcc, v12, v16, vcc
	v_ashrrev_i32_e32 v18, 31, v11
	v_add_co_u32_e32 v12, vcc, v10, v18
	v_addc_co_u32_e32 v13, vcc, v11, v18, vcc
	v_xor_b32_e32 v20, v12, v18
	v_xor_b32_e32 v19, v13, v18
	v_mad_u64_u32 v[12:13], s[4:5], v20, v16, 0
	v_mul_hi_u32 v17, v20, v5
	v_add_co_u32_e32 v21, vcc, v17, v12
	v_addc_co_u32_e32 v22, vcc, 0, v13, vcc
	v_mad_u64_u32 v[12:13], s[4:5], v19, v16, 0
	v_mad_u64_u32 v[16:17], s[4:5], v19, v5, 0
	v_add_co_u32_e32 v5, vcc, v21, v16
	v_addc_co_u32_e32 v5, vcc, v22, v17, vcc
	v_addc_co_u32_e32 v13, vcc, 0, v13, vcc
	v_add_co_u32_e32 v5, vcc, v5, v12
	v_addc_co_u32_e32 v16, vcc, 0, v13, vcc
	v_mul_lo_u32 v17, s43, v5
	v_mul_lo_u32 v21, s42, v16
	v_mad_u64_u32 v[12:13], s[4:5], s42, v5, 0
	v_add3_u32 v13, v13, v21, v17
	v_sub_u32_e32 v17, v19, v13
	v_mov_b32_e32 v21, s43
	v_sub_co_u32_e32 v12, vcc, v20, v12
	v_subb_co_u32_e64 v17, s[4:5], v17, v21, vcc
	v_subrev_co_u32_e64 v20, s[4:5], s42, v12
	v_subbrev_co_u32_e64 v17, s[4:5], 0, v17, s[4:5]
	v_cmp_le_u32_e64 s[4:5], s43, v17
	v_cndmask_b32_e64 v21, 0, -1, s[4:5]
	v_cmp_le_u32_e64 s[4:5], s42, v20
	v_cndmask_b32_e64 v20, 0, -1, s[4:5]
	v_cmp_eq_u32_e64 s[4:5], s43, v17
	v_cndmask_b32_e64 v17, v21, v20, s[4:5]
	v_add_co_u32_e64 v20, s[4:5], 2, v5
	v_subb_co_u32_e32 v13, vcc, v19, v13, vcc
	v_addc_co_u32_e64 v21, s[4:5], 0, v16, s[4:5]
	v_cmp_le_u32_e32 vcc, s43, v13
	v_add_co_u32_e64 v22, s[4:5], 1, v5
	v_cndmask_b32_e64 v19, 0, -1, vcc
	v_cmp_le_u32_e32 vcc, s42, v12
	v_addc_co_u32_e64 v23, s[4:5], 0, v16, s[4:5]
	v_cndmask_b32_e64 v12, 0, -1, vcc
	v_cmp_eq_u32_e32 vcc, s43, v13
	v_cmp_ne_u32_e64 s[4:5], 0, v17
	v_cndmask_b32_e32 v12, v19, v12, vcc
	v_cmp_ne_u32_e32 vcc, 0, v12
	v_cndmask_b32_e64 v13, v22, v20, s[4:5]
	v_cndmask_b32_e64 v17, v23, v21, s[4:5]
	v_cndmask_b32_e32 v5, v5, v13, vcc
	v_xor_b32_e32 v13, s40, v18
	v_cndmask_b32_e32 v12, v16, v17, vcc
	v_xor_b32_e32 v5, v5, v13
	v_xor_b32_e32 v16, v12, v13
	v_sub_co_u32_e32 v12, vcc, v5, v13
	v_subb_co_u32_e32 v13, vcc, v16, v13, vcc
.LBB22_13:                              ;   in Loop: Header=BB22_11 Depth=2
	s_andn2_saveexec_b64 s[4:5], s[38:39]
	s_cbranch_execz .LBB22_15
; %bb.14:                               ;   in Loop: Header=BB22_11 Depth=2
	v_cvt_f32_u32_e32 v5, s36
	s_sub_i32 s38, 0, s36
	v_rcp_iflag_f32_e32 v5, v5
	v_mul_f32_e32 v5, 0x4f7ffffe, v5
	v_cvt_u32_f32_e32 v5, v5
	v_mul_lo_u32 v12, s38, v5
	v_mul_hi_u32 v12, v5, v12
	v_add_u32_e32 v5, v5, v12
	v_mul_hi_u32 v5, v10, v5
	v_mul_lo_u32 v12, v5, s36
	v_sub_u32_e32 v12, v10, v12
	v_add_u32_e32 v13, 1, v5
	v_subrev_u32_e32 v16, s36, v12
	v_cmp_le_u32_e32 vcc, s36, v12
	v_cndmask_b32_e32 v12, v12, v16, vcc
	v_cndmask_b32_e32 v5, v5, v13, vcc
	v_add_u32_e32 v13, 1, v5
	v_cmp_le_u32_e32 vcc, s36, v12
	v_cndmask_b32_e32 v12, v5, v13, vcc
	v_mov_b32_e32 v13, v4
.LBB22_15:                              ;   in Loop: Header=BB22_11 Depth=2
	s_or_b64 exec, exec, s[4:5]
	v_mad_u64_u32 v[16:17], s[4:5], v12, s36, 0
	s_load_dwordx2 s[4:5], s[34:35], 0xc8
	v_mul_lo_u32 v5, v13, s36
	v_mul_lo_u32 v18, v12, s37
	v_add3_u32 v5, v17, v18, v5
	v_sub_co_u32_e32 v10, vcc, v10, v16
	s_add_i32 s30, s30, -1
	v_subb_co_u32_e32 v5, vcc, v11, v5, vcc
	s_add_u32 s34, s34, -8
	s_waitcnt lgkmcnt(0)
	v_mul_lo_u32 v5, s4, v5
	v_mul_lo_u32 v11, s5, v10
	v_mad_u64_u32 v[8:9], s[4:5], s4, v10, v[8:9]
	s_addc_u32 s35, s35, -1
	s_cmp_gt_u32 s30, 2
	v_add3_u32 v9, v11, v9, v5
	s_cbranch_scc0 .LBB22_17
; %bb.16:                               ;   in Loop: Header=BB22_11 Depth=2
	v_pk_mov_b32 v[10:11], v[12:13], v[12:13] op_sel:[0,1]
	s_branch .LBB22_11
.LBB22_17:                              ;   in Loop: Header=BB22_10 Depth=1
	v_pk_mov_b32 v[10:11], s[24:25], s[24:25] op_sel:[0,1]
	v_mad_u64_u32 v[10:11], s[4:5], s22, v12, v[10:11]
	v_mul_lo_u32 v5, s22, v13
	v_mul_lo_u32 v12, s23, v12
	v_add3_u32 v5, v12, v11, v5
	v_add_co_u32_e32 v8, vcc, v10, v8
	v_addc_co_u32_e32 v9, vcc, v5, v9, vcc
	global_load_sbyte v5, v[8:9], off
	s_waitcnt vmcnt(0)
	v_bfe_i32 v8, v5, 0, 16
	v_ashrrev_i32_e32 v9, 31, v8
	v_cmp_le_i64_e32 vcc, s[10:11], v[8:9]
	v_cmp_ge_i64_e64 s[4:5], s[12:13], v[8:9]
	s_and_b64 s[4:5], vcc, s[4:5]
	s_and_saveexec_b64 s[34:35], s[4:5]
	s_cbranch_execz .LBB22_9
; %bb.18:                               ;   in Loop: Header=BB22_10 Depth=1
	v_mov_b32_e32 v5, s11
	v_subrev_co_u32_e32 v8, vcc, s10, v8
	v_subb_co_u32_e32 v5, vcc, v9, v5, vcc
	v_mul_lo_u32 v5, v5, s8
	v_mul_lo_u32 v10, v8, s9
	v_mad_u64_u32 v[8:9], s[4:5], v8, s8, 0
	v_add3_u32 v9, v9, v10, v5
	v_or_b32_e32 v5, s44, v9
	v_cmp_ne_u64_e32 vcc, 0, v[4:5]
                                        ; implicit-def: $vgpr10_vgpr11
	s_and_saveexec_b64 s[4:5], vcc
	s_xor_b64 s[36:37], exec, s[4:5]
	s_cbranch_execz .LBB22_20
; %bb.19:                               ;   in Loop: Header=BB22_10 Depth=1
	s_ashr_i32 s38, s44, 31
	s_add_u32 s4, s33, s38
	s_mov_b32 s39, s38
	s_addc_u32 s5, s44, s38
	s_xor_b64 s[40:41], s[4:5], s[38:39]
	v_cvt_f32_u32_e32 v5, s40
	v_cvt_f32_u32_e32 v10, s41
	s_sub_u32 s4, 0, s40
	s_subb_u32 s5, 0, s41
	v_mac_f32_e32 v5, 0x4f800000, v10
	v_rcp_f32_e32 v5, v5
	v_mul_f32_e32 v5, 0x5f7ffffc, v5
	v_mul_f32_e32 v10, 0x2f800000, v5
	v_trunc_f32_e32 v10, v10
	v_mac_f32_e32 v5, 0xcf800000, v10
	v_cvt_u32_f32_e32 v10, v10
	v_cvt_u32_f32_e32 v5, v5
	v_mul_lo_u32 v11, s4, v10
	v_mul_hi_u32 v13, s4, v5
	v_mul_lo_u32 v12, s5, v5
	v_add_u32_e32 v11, v13, v11
	v_mul_lo_u32 v16, s4, v5
	v_add_u32_e32 v11, v11, v12
	v_mul_lo_u32 v13, v5, v11
	v_mul_hi_u32 v17, v5, v16
	v_mul_hi_u32 v12, v5, v11
	v_add_co_u32_e32 v13, vcc, v17, v13
	v_addc_co_u32_e32 v12, vcc, 0, v12, vcc
	v_mul_hi_u32 v18, v10, v16
	v_mul_lo_u32 v16, v10, v16
	v_add_co_u32_e32 v13, vcc, v13, v16
	v_mul_hi_u32 v17, v10, v11
	v_addc_co_u32_e32 v12, vcc, v12, v18, vcc
	v_addc_co_u32_e32 v13, vcc, 0, v17, vcc
	v_mul_lo_u32 v11, v10, v11
	v_add_co_u32_e32 v11, vcc, v12, v11
	v_addc_co_u32_e32 v12, vcc, 0, v13, vcc
	v_add_co_u32_e32 v5, vcc, v5, v11
	v_addc_co_u32_e32 v10, vcc, v10, v12, vcc
	v_mul_lo_u32 v11, s4, v10
	v_mul_hi_u32 v12, s4, v5
	v_add_u32_e32 v11, v12, v11
	v_mul_lo_u32 v12, s5, v5
	v_add_u32_e32 v11, v11, v12
	v_mul_lo_u32 v13, s4, v5
	v_mul_hi_u32 v16, v10, v13
	v_mul_lo_u32 v17, v10, v13
	v_mul_lo_u32 v19, v5, v11
	v_mul_hi_u32 v13, v5, v13
	v_mul_hi_u32 v18, v5, v11
	v_add_co_u32_e32 v13, vcc, v13, v19
	v_addc_co_u32_e32 v18, vcc, 0, v18, vcc
	v_add_co_u32_e32 v13, vcc, v13, v17
	v_mul_hi_u32 v12, v10, v11
	v_addc_co_u32_e32 v13, vcc, v18, v16, vcc
	v_addc_co_u32_e32 v12, vcc, 0, v12, vcc
	v_mul_lo_u32 v11, v10, v11
	v_add_co_u32_e32 v11, vcc, v13, v11
	v_addc_co_u32_e32 v12, vcc, 0, v12, vcc
	v_add_co_u32_e32 v5, vcc, v5, v11
	v_addc_co_u32_e32 v10, vcc, v10, v12, vcc
	v_ashrrev_i32_e32 v12, 31, v9
	v_add_co_u32_e32 v8, vcc, v8, v12
	v_addc_co_u32_e32 v9, vcc, v9, v12, vcc
	v_xor_b32_e32 v16, v8, v12
	v_xor_b32_e32 v13, v9, v12
	v_mad_u64_u32 v[8:9], s[4:5], v16, v10, 0
	v_mul_hi_u32 v11, v16, v5
	v_add_co_u32_e32 v17, vcc, v11, v8
	v_addc_co_u32_e32 v18, vcc, 0, v9, vcc
	v_mad_u64_u32 v[8:9], s[4:5], v13, v10, 0
	v_mad_u64_u32 v[10:11], s[4:5], v13, v5, 0
	v_add_co_u32_e32 v5, vcc, v17, v10
	v_addc_co_u32_e32 v5, vcc, v18, v11, vcc
	v_addc_co_u32_e32 v9, vcc, 0, v9, vcc
	v_add_co_u32_e32 v5, vcc, v5, v8
	v_addc_co_u32_e32 v8, vcc, 0, v9, vcc
	v_mul_lo_u32 v10, s41, v5
	v_mul_lo_u32 v11, s40, v8
	v_mad_u64_u32 v[8:9], s[4:5], s40, v5, 0
	v_add3_u32 v9, v9, v11, v10
	v_sub_u32_e32 v10, v13, v9
	v_mov_b32_e32 v11, s41
	v_sub_co_u32_e32 v8, vcc, v16, v8
	v_subb_co_u32_e64 v10, s[4:5], v10, v11, vcc
	v_subrev_co_u32_e64 v11, s[4:5], s40, v8
	v_subbrev_co_u32_e64 v10, s[4:5], 0, v10, s[4:5]
	v_cmp_le_u32_e64 s[4:5], s41, v10
	v_subb_co_u32_e32 v9, vcc, v13, v9, vcc
	v_cndmask_b32_e64 v16, 0, -1, s[4:5]
	v_cmp_le_u32_e64 s[4:5], s40, v11
	v_cmp_le_u32_e32 vcc, s41, v9
	v_cndmask_b32_e64 v11, 0, -1, s[4:5]
	v_cmp_eq_u32_e64 s[4:5], s41, v10
	v_cndmask_b32_e64 v13, 0, -1, vcc
	v_cmp_le_u32_e32 vcc, s40, v8
	v_cndmask_b32_e64 v10, v16, v11, s[4:5]
	v_cndmask_b32_e64 v8, 0, -1, vcc
	v_cmp_eq_u32_e32 vcc, s41, v9
	v_add_co_u32_e64 v11, s[4:5], 2, v5
	v_add_co_u32_e64 v16, s[4:5], 1, v5
	v_cndmask_b32_e32 v8, v13, v8, vcc
	v_cmp_ne_u32_e32 vcc, 0, v10
	v_cndmask_b32_e32 v9, v16, v11, vcc
	v_cmp_ne_u32_e32 vcc, 0, v8
	v_cndmask_b32_e32 v5, v5, v9, vcc
	v_xor_b32_e32 v8, s38, v12
	v_xor_b32_e32 v5, v5, v8
	v_sub_co_u32_e32 v10, vcc, v5, v8
                                        ; implicit-def: $vgpr8_vgpr9
.LBB22_20:                              ;   in Loop: Header=BB22_10 Depth=1
	s_andn2_saveexec_b64 s[4:5], s[36:37]
	s_cbranch_execz .LBB22_8
; %bb.21:                               ;   in Loop: Header=BB22_10 Depth=1
	v_cvt_f32_u32_e32 v5, s33
	s_sub_i32 s30, 0, s33
	v_rcp_iflag_f32_e32 v5, v5
	v_mul_f32_e32 v5, 0x4f7ffffe, v5
	v_cvt_u32_f32_e32 v5, v5
	v_mul_lo_u32 v9, s30, v5
	v_mul_hi_u32 v9, v5, v9
	v_add_u32_e32 v5, v5, v9
	v_mul_hi_u32 v5, v8, v5
	v_mul_lo_u32 v9, v5, s33
	v_sub_u32_e32 v8, v8, v9
	v_add_u32_e32 v10, 1, v5
	v_subrev_u32_e32 v9, s33, v8
	v_cmp_le_u32_e32 vcc, s33, v8
	v_cndmask_b32_e32 v8, v8, v9, vcc
	v_cndmask_b32_e32 v5, v5, v10, vcc
	v_add_u32_e32 v9, 1, v5
	v_cmp_le_u32_e32 vcc, s33, v8
	v_cndmask_b32_e32 v10, v5, v9, vcc
	s_branch .LBB22_8
.LBB22_22:
	s_or_b64 exec, exec, s[6:7]
; %bb.23:
	s_waitcnt lgkmcnt(0)
	s_barrier
	s_and_saveexec_b64 s[2:3], s[0:1]
	s_cbranch_execz .LBB22_26
; %bb.24:
	v_mad_u64_u32 v[4:5], s[0:1], s20, v0, 0
	v_mov_b32_e32 v6, v5
	v_and_b32_e32 v2, 0xffff, v7
	v_mad_u64_u32 v[6:7], s[0:1], s21, v0, v[6:7]
	v_mov_b32_e32 v5, v6
	v_mad_u64_u32 v[6:7], s[0:1], s20, v2, 0
	v_mov_b32_e32 v8, v7
	v_lshlrev_b64 v[4:5], 3, v[4:5]
	v_mad_u64_u32 v[8:9], s[0:1], s21, v2, v[8:9]
	v_mov_b32_e32 v3, s17
	v_add_co_u32_e32 v4, vcc, s16, v4
	v_mov_b32_e32 v7, v8
	v_addc_co_u32_e32 v5, vcc, v3, v5, vcc
	v_lshlrev_b64 v[6:7], 3, v[6:7]
	v_lshlrev_b32_e32 v3, 3, v15
	s_mov_b64 s[0:1], 0
.LBB22_25:                              ; =>This Inner Loop Header: Depth=1
	ds_read_b64 v[8:9], v14
	v_add_co_u32_e32 v0, vcc, v0, v2
	v_addc_co_u32_e32 v1, vcc, 0, v1, vcc
	s_waitcnt lgkmcnt(0)
	global_atomic_add_f64 v[4:5], v[8:9], off
	v_cmp_le_i64_e32 vcc, s[18:19], v[0:1]
	s_or_b64 s[0:1], vcc, s[0:1]
	v_add_co_u32_e32 v4, vcc, v4, v6
	v_add_u32_e32 v14, v14, v3
	v_addc_co_u32_e32 v5, vcc, v5, v7, vcc
	s_andn2_b64 exec, exec, s[0:1]
	s_cbranch_execnz .LBB22_25
.LBB22_26:
	s_endpgm
	.section	.rodata,"a",@progbits
	.p2align	6, 0x0
	.amdhsa_kernel _ZN2at4cuda17kernelHistogram1DIdalLi1ELi2ELin1ELNS0_23CUDAHistogramMemoryTypeE0EZNS0_21CUDA_tensor_histogramIdaLb1EEEbNS_6TensorES4_S4_lNS_14AccumulateTypeIT0_Lb1EE4typeES8_NS0_13TensorArgTypeES9_S9_EUllE0_EEvNS0_6detail10TensorInfoIT_T1_EESF_NSC_IKS6_SE_EElS8_S8_SE_T6_
		.amdhsa_group_segment_fixed_size 0
		.amdhsa_private_segment_fixed_size 0
		.amdhsa_kernarg_size 1544
		.amdhsa_user_sgpr_count 6
		.amdhsa_user_sgpr_private_segment_buffer 1
		.amdhsa_user_sgpr_dispatch_ptr 0
		.amdhsa_user_sgpr_queue_ptr 0
		.amdhsa_user_sgpr_kernarg_segment_ptr 1
		.amdhsa_user_sgpr_dispatch_id 0
		.amdhsa_user_sgpr_flat_scratch_init 0
		.amdhsa_user_sgpr_kernarg_preload_length 0
		.amdhsa_user_sgpr_kernarg_preload_offset 0
		.amdhsa_user_sgpr_private_segment_size 0
		.amdhsa_uses_dynamic_stack 0
		.amdhsa_system_sgpr_private_segment_wavefront_offset 0
		.amdhsa_system_sgpr_workgroup_id_x 1
		.amdhsa_system_sgpr_workgroup_id_y 0
		.amdhsa_system_sgpr_workgroup_id_z 0
		.amdhsa_system_sgpr_workgroup_info 0
		.amdhsa_system_vgpr_workitem_id 0
		.amdhsa_next_free_vgpr 24
		.amdhsa_next_free_sgpr 46
		.amdhsa_accum_offset 24
		.amdhsa_reserve_vcc 1
		.amdhsa_reserve_flat_scratch 0
		.amdhsa_float_round_mode_32 0
		.amdhsa_float_round_mode_16_64 0
		.amdhsa_float_denorm_mode_32 3
		.amdhsa_float_denorm_mode_16_64 3
		.amdhsa_dx10_clamp 1
		.amdhsa_ieee_mode 1
		.amdhsa_fp16_overflow 0
		.amdhsa_tg_split 0
		.amdhsa_exception_fp_ieee_invalid_op 0
		.amdhsa_exception_fp_denorm_src 0
		.amdhsa_exception_fp_ieee_div_zero 0
		.amdhsa_exception_fp_ieee_overflow 0
		.amdhsa_exception_fp_ieee_underflow 0
		.amdhsa_exception_fp_ieee_inexact 0
		.amdhsa_exception_int_div_zero 0
	.end_amdhsa_kernel
	.section	.text._ZN2at4cuda17kernelHistogram1DIdalLi1ELi2ELin1ELNS0_23CUDAHistogramMemoryTypeE0EZNS0_21CUDA_tensor_histogramIdaLb1EEEbNS_6TensorES4_S4_lNS_14AccumulateTypeIT0_Lb1EE4typeES8_NS0_13TensorArgTypeES9_S9_EUllE0_EEvNS0_6detail10TensorInfoIT_T1_EESF_NSC_IKS6_SE_EElS8_S8_SE_T6_,"axG",@progbits,_ZN2at4cuda17kernelHistogram1DIdalLi1ELi2ELin1ELNS0_23CUDAHistogramMemoryTypeE0EZNS0_21CUDA_tensor_histogramIdaLb1EEEbNS_6TensorES4_S4_lNS_14AccumulateTypeIT0_Lb1EE4typeES8_NS0_13TensorArgTypeES9_S9_EUllE0_EEvNS0_6detail10TensorInfoIT_T1_EESF_NSC_IKS6_SE_EElS8_S8_SE_T6_,comdat
.Lfunc_end22:
	.size	_ZN2at4cuda17kernelHistogram1DIdalLi1ELi2ELin1ELNS0_23CUDAHistogramMemoryTypeE0EZNS0_21CUDA_tensor_histogramIdaLb1EEEbNS_6TensorES4_S4_lNS_14AccumulateTypeIT0_Lb1EE4typeES8_NS0_13TensorArgTypeES9_S9_EUllE0_EEvNS0_6detail10TensorInfoIT_T1_EESF_NSC_IKS6_SE_EElS8_S8_SE_T6_, .Lfunc_end22-_ZN2at4cuda17kernelHistogram1DIdalLi1ELi2ELin1ELNS0_23CUDAHistogramMemoryTypeE0EZNS0_21CUDA_tensor_histogramIdaLb1EEEbNS_6TensorES4_S4_lNS_14AccumulateTypeIT0_Lb1EE4typeES8_NS0_13TensorArgTypeES9_S9_EUllE0_EEvNS0_6detail10TensorInfoIT_T1_EESF_NSC_IKS6_SE_EElS8_S8_SE_T6_
                                        ; -- End function
	.section	.AMDGPU.csdata,"",@progbits
; Kernel info:
; codeLenInByte = 2508
; NumSgprs: 50
; NumVgprs: 24
; NumAgprs: 0
; TotalNumVgprs: 24
; ScratchSize: 0
; MemoryBound: 0
; FloatMode: 240
; IeeeMode: 1
; LDSByteSize: 0 bytes/workgroup (compile time only)
; SGPRBlocks: 6
; VGPRBlocks: 2
; NumSGPRsForWavesPerEU: 50
; NumVGPRsForWavesPerEU: 24
; AccumOffset: 24
; Occupancy: 8
; WaveLimiterHint : 1
; COMPUTE_PGM_RSRC2:SCRATCH_EN: 0
; COMPUTE_PGM_RSRC2:USER_SGPR: 6
; COMPUTE_PGM_RSRC2:TRAP_HANDLER: 0
; COMPUTE_PGM_RSRC2:TGID_X_EN: 1
; COMPUTE_PGM_RSRC2:TGID_Y_EN: 0
; COMPUTE_PGM_RSRC2:TGID_Z_EN: 0
; COMPUTE_PGM_RSRC2:TIDIG_COMP_CNT: 0
; COMPUTE_PGM_RSRC3_GFX90A:ACCUM_OFFSET: 5
; COMPUTE_PGM_RSRC3_GFX90A:TG_SPLIT: 0
	.section	.text._ZN2at4cuda17kernelHistogram1DIdalLi1ELi2ELin1ELNS0_23CUDAHistogramMemoryTypeE1EZNS0_21CUDA_tensor_histogramIdaLb1EEEbNS_6TensorES4_S4_lNS_14AccumulateTypeIT0_Lb1EE4typeES8_NS0_13TensorArgTypeES9_S9_EUllE0_EEvNS0_6detail10TensorInfoIT_T1_EESF_NSC_IKS6_SE_EElS8_S8_SE_T6_,"axG",@progbits,_ZN2at4cuda17kernelHistogram1DIdalLi1ELi2ELin1ELNS0_23CUDAHistogramMemoryTypeE1EZNS0_21CUDA_tensor_histogramIdaLb1EEEbNS_6TensorES4_S4_lNS_14AccumulateTypeIT0_Lb1EE4typeES8_NS0_13TensorArgTypeES9_S9_EUllE0_EEvNS0_6detail10TensorInfoIT_T1_EESF_NSC_IKS6_SE_EElS8_S8_SE_T6_,comdat
	.protected	_ZN2at4cuda17kernelHistogram1DIdalLi1ELi2ELin1ELNS0_23CUDAHistogramMemoryTypeE1EZNS0_21CUDA_tensor_histogramIdaLb1EEEbNS_6TensorES4_S4_lNS_14AccumulateTypeIT0_Lb1EE4typeES8_NS0_13TensorArgTypeES9_S9_EUllE0_EEvNS0_6detail10TensorInfoIT_T1_EESF_NSC_IKS6_SE_EElS8_S8_SE_T6_ ; -- Begin function _ZN2at4cuda17kernelHistogram1DIdalLi1ELi2ELin1ELNS0_23CUDAHistogramMemoryTypeE1EZNS0_21CUDA_tensor_histogramIdaLb1EEEbNS_6TensorES4_S4_lNS_14AccumulateTypeIT0_Lb1EE4typeES8_NS0_13TensorArgTypeES9_S9_EUllE0_EEvNS0_6detail10TensorInfoIT_T1_EESF_NSC_IKS6_SE_EElS8_S8_SE_T6_
	.globl	_ZN2at4cuda17kernelHistogram1DIdalLi1ELi2ELin1ELNS0_23CUDAHistogramMemoryTypeE1EZNS0_21CUDA_tensor_histogramIdaLb1EEEbNS_6TensorES4_S4_lNS_14AccumulateTypeIT0_Lb1EE4typeES8_NS0_13TensorArgTypeES9_S9_EUllE0_EEvNS0_6detail10TensorInfoIT_T1_EESF_NSC_IKS6_SE_EElS8_S8_SE_T6_
	.p2align	8
	.type	_ZN2at4cuda17kernelHistogram1DIdalLi1ELi2ELin1ELNS0_23CUDAHistogramMemoryTypeE1EZNS0_21CUDA_tensor_histogramIdaLb1EEEbNS_6TensorES4_S4_lNS_14AccumulateTypeIT0_Lb1EE4typeES8_NS0_13TensorArgTypeES9_S9_EUllE0_EEvNS0_6detail10TensorInfoIT_T1_EESF_NSC_IKS6_SE_EElS8_S8_SE_T6_,@function
_ZN2at4cuda17kernelHistogram1DIdalLi1ELi2ELin1ELNS0_23CUDAHistogramMemoryTypeE1EZNS0_21CUDA_tensor_histogramIdaLb1EEEbNS_6TensorES4_S4_lNS_14AccumulateTypeIT0_Lb1EE4typeES8_NS0_13TensorArgTypeES9_S9_EUllE0_EEvNS0_6detail10TensorInfoIT_T1_EESF_NSC_IKS6_SE_EElS8_S8_SE_T6_: ; @_ZN2at4cuda17kernelHistogram1DIdalLi1ELi2ELin1ELNS0_23CUDAHistogramMemoryTypeE1EZNS0_21CUDA_tensor_histogramIdaLb1EEEbNS_6TensorES4_S4_lNS_14AccumulateTypeIT0_Lb1EE4typeES8_NS0_13TensorArgTypeES9_S9_EUllE0_EEvNS0_6detail10TensorInfoIT_T1_EESF_NSC_IKS6_SE_EElS8_S8_SE_T6_
; %bb.0:
	s_load_dword s2, s[4:5], 0x514
	s_load_dwordx8 s[8:15], s[4:5], 0x4e0
	s_add_u32 s0, s4, 0x508
	s_addc_u32 s1, s5, 0
	v_mov_b32_e32 v2, 0
	s_waitcnt lgkmcnt(0)
	s_and_b32 s2, s2, 0xffff
	s_mul_i32 s6, s6, s2
	v_add_u32_e32 v0, s6, v0
	v_mov_b32_e32 v1, v2
	v_cmp_gt_i64_e32 vcc, s[14:15], v[0:1]
	s_and_saveexec_b64 s[6:7], vcc
	s_cbranch_execz .LBB23_16
; %bb.1:
	s_load_dword s3, s[4:5], 0x4d8
	s_load_dwordx2 s[6:7], s[4:5], 0x0
	s_load_dwordx2 s[16:17], s[4:5], 0xd0
	s_load_dword s24, s[0:1], 0x0
	s_add_u32 s22, s4, 0x340
	s_addc_u32 s23, s5, 0
	s_mov_b32 s38, 0
	s_waitcnt lgkmcnt(0)
	s_cmp_gt_i32 s3, 1
	s_cselect_b64 s[0:1], -1, 0
	s_sub_u32 s33, s12, s10
	s_subb_u32 s36, s13, s11
	s_mul_i32 s37, s24, s2
	s_add_i32 s39, s3, 1
	s_add_i32 s2, s3, -1
	s_mov_b32 s3, s38
	s_load_dwordx2 s[18:19], s[4:5], 0x410
	s_load_dwordx2 s[20:21], s[4:5], 0x340
	s_lshl_b64 s[2:3], s[2:3], 3
	s_add_u32 s2, s2, s22
	s_addc_u32 s3, s3, s23
	s_add_u32 s4, s2, 8
	v_cndmask_b32_e64 v3, 0, 1, s[0:1]
	s_addc_u32 s5, s3, 0
	s_mov_b64 s[22:23], 0
	v_cmp_ne_u32_e64 s[0:1], 1, v3
	s_branch .LBB23_4
.LBB23_2:                               ;   in Loop: Header=BB23_4 Depth=1
	s_or_b64 exec, exec, s[2:3]
	v_ashrrev_i32_e32 v7, 31, v6
	v_cmp_eq_u64_e32 vcc, s[8:9], v[6:7]
	v_cndmask_b32_e64 v3, 0, 1, vcc
	v_sub_co_u32_e32 v3, vcc, v6, v3
	v_subbrev_co_u32_e32 v4, vcc, 0, v7, vcc
	v_mul_lo_u32 v6, v4, s16
	v_mul_lo_u32 v7, v3, s17
	v_mad_u64_u32 v[4:5], s[2:3], v3, s16, 0
	v_add3_u32 v5, v5, v7, v6
	v_lshlrev_b64 v[4:5], 3, v[4:5]
	v_mov_b32_e32 v3, s7
	v_add_co_u32_e32 v4, vcc, s6, v4
	v_mov_b32_e32 v6, 0
	v_addc_co_u32_e32 v5, vcc, v3, v5, vcc
	v_mov_b32_e32 v7, 0x3ff00000
	global_atomic_add_f64 v[4:5], v[6:7], off
.LBB23_3:                               ;   in Loop: Header=BB23_4 Depth=1
	s_or_b64 exec, exec, s[24:25]
	v_mov_b32_e32 v3, s38
	v_add_co_u32_e32 v0, vcc, s37, v0
	v_addc_co_u32_e32 v1, vcc, v1, v3, vcc
	v_cmp_le_i64_e32 vcc, s[14:15], v[0:1]
	s_or_b64 s[22:23], vcc, s[22:23]
	s_andn2_b64 exec, exec, s[22:23]
	s_cbranch_execz .LBB23_16
.LBB23_4:                               ; =>This Loop Header: Depth=1
                                        ;     Child Loop BB23_5 Depth 2
	s_and_b64 vcc, exec, s[0:1]
	v_pk_mov_b32 v[4:5], 0, 0
	s_mov_b64 s[24:25], s[4:5]
	s_mov_b32 s40, s39
	v_pk_mov_b32 v[6:7], v[0:1], v[0:1] op_sel:[0,1]
	v_pk_mov_b32 v[8:9], v[0:1], v[0:1] op_sel:[0,1]
	s_cbranch_vccnz .LBB23_11
.LBB23_5:                               ;   Parent Loop BB23_4 Depth=1
                                        ; =>  This Inner Loop Header: Depth=2
	s_load_dwordx2 s[26:27], s[24:25], 0x0
                                        ; implicit-def: $vgpr8_vgpr9
	s_waitcnt lgkmcnt(0)
	v_or_b32_e32 v3, s27, v7
	v_cmp_ne_u64_e32 vcc, 0, v[2:3]
	s_and_saveexec_b64 s[2:3], vcc
	s_xor_b64 s[28:29], exec, s[2:3]
	s_cbranch_execz .LBB23_7
; %bb.6:                                ;   in Loop: Header=BB23_5 Depth=2
	s_ashr_i32 s30, s27, 31
	s_add_u32 s2, s26, s30
	s_mov_b32 s31, s30
	s_addc_u32 s3, s27, s30
	s_xor_b64 s[34:35], s[2:3], s[30:31]
	v_cvt_f32_u32_e32 v3, s34
	v_cvt_f32_u32_e32 v8, s35
	s_sub_u32 s2, 0, s34
	s_subb_u32 s3, 0, s35
	v_mac_f32_e32 v3, 0x4f800000, v8
	v_rcp_f32_e32 v3, v3
	v_mul_f32_e32 v3, 0x5f7ffffc, v3
	v_mul_f32_e32 v8, 0x2f800000, v3
	v_trunc_f32_e32 v8, v8
	v_mac_f32_e32 v3, 0xcf800000, v8
	v_cvt_u32_f32_e32 v8, v8
	v_cvt_u32_f32_e32 v3, v3
	v_mul_lo_u32 v9, s2, v8
	v_mul_hi_u32 v11, s2, v3
	v_mul_lo_u32 v10, s3, v3
	v_add_u32_e32 v9, v11, v9
	v_mul_lo_u32 v12, s2, v3
	v_add_u32_e32 v9, v9, v10
	v_mul_lo_u32 v11, v3, v9
	v_mul_hi_u32 v13, v3, v12
	v_mul_hi_u32 v10, v3, v9
	v_add_co_u32_e32 v11, vcc, v13, v11
	v_addc_co_u32_e32 v10, vcc, 0, v10, vcc
	v_mul_hi_u32 v14, v8, v12
	v_mul_lo_u32 v12, v8, v12
	v_add_co_u32_e32 v11, vcc, v11, v12
	v_mul_hi_u32 v13, v8, v9
	v_addc_co_u32_e32 v10, vcc, v10, v14, vcc
	v_addc_co_u32_e32 v11, vcc, 0, v13, vcc
	v_mul_lo_u32 v9, v8, v9
	v_add_co_u32_e32 v9, vcc, v10, v9
	v_addc_co_u32_e32 v10, vcc, 0, v11, vcc
	v_add_co_u32_e32 v3, vcc, v3, v9
	v_addc_co_u32_e32 v8, vcc, v8, v10, vcc
	v_mul_lo_u32 v9, s2, v8
	v_mul_hi_u32 v10, s2, v3
	v_add_u32_e32 v9, v10, v9
	v_mul_lo_u32 v10, s3, v3
	v_add_u32_e32 v9, v9, v10
	v_mul_lo_u32 v11, s2, v3
	v_mul_hi_u32 v12, v8, v11
	v_mul_lo_u32 v13, v8, v11
	v_mul_lo_u32 v15, v3, v9
	v_mul_hi_u32 v11, v3, v11
	v_mul_hi_u32 v14, v3, v9
	v_add_co_u32_e32 v11, vcc, v11, v15
	v_addc_co_u32_e32 v14, vcc, 0, v14, vcc
	v_add_co_u32_e32 v11, vcc, v11, v13
	v_mul_hi_u32 v10, v8, v9
	v_addc_co_u32_e32 v11, vcc, v14, v12, vcc
	v_addc_co_u32_e32 v10, vcc, 0, v10, vcc
	v_mul_lo_u32 v9, v8, v9
	v_add_co_u32_e32 v9, vcc, v11, v9
	v_addc_co_u32_e32 v10, vcc, 0, v10, vcc
	v_add_co_u32_e32 v3, vcc, v3, v9
	v_addc_co_u32_e32 v10, vcc, v8, v10, vcc
	v_ashrrev_i32_e32 v12, 31, v7
	v_add_co_u32_e32 v8, vcc, v6, v12
	v_addc_co_u32_e32 v9, vcc, v7, v12, vcc
	v_xor_b32_e32 v14, v8, v12
	v_xor_b32_e32 v13, v9, v12
	v_mad_u64_u32 v[8:9], s[2:3], v14, v10, 0
	v_mul_hi_u32 v11, v14, v3
	v_add_co_u32_e32 v15, vcc, v11, v8
	v_addc_co_u32_e32 v16, vcc, 0, v9, vcc
	v_mad_u64_u32 v[8:9], s[2:3], v13, v10, 0
	v_mad_u64_u32 v[10:11], s[2:3], v13, v3, 0
	v_add_co_u32_e32 v3, vcc, v15, v10
	v_addc_co_u32_e32 v3, vcc, v16, v11, vcc
	v_addc_co_u32_e32 v9, vcc, 0, v9, vcc
	v_add_co_u32_e32 v3, vcc, v3, v8
	v_addc_co_u32_e32 v10, vcc, 0, v9, vcc
	v_mul_lo_u32 v11, s35, v3
	v_mul_lo_u32 v15, s34, v10
	v_mad_u64_u32 v[8:9], s[2:3], s34, v3, 0
	v_add3_u32 v9, v9, v15, v11
	v_sub_u32_e32 v11, v13, v9
	v_mov_b32_e32 v15, s35
	v_sub_co_u32_e32 v8, vcc, v14, v8
	v_subb_co_u32_e64 v11, s[2:3], v11, v15, vcc
	v_subrev_co_u32_e64 v14, s[2:3], s34, v8
	v_subbrev_co_u32_e64 v11, s[2:3], 0, v11, s[2:3]
	v_cmp_le_u32_e64 s[2:3], s35, v11
	v_cndmask_b32_e64 v15, 0, -1, s[2:3]
	v_cmp_le_u32_e64 s[2:3], s34, v14
	v_cndmask_b32_e64 v14, 0, -1, s[2:3]
	v_cmp_eq_u32_e64 s[2:3], s35, v11
	v_cndmask_b32_e64 v11, v15, v14, s[2:3]
	v_add_co_u32_e64 v14, s[2:3], 2, v3
	v_subb_co_u32_e32 v9, vcc, v13, v9, vcc
	v_addc_co_u32_e64 v15, s[2:3], 0, v10, s[2:3]
	v_cmp_le_u32_e32 vcc, s35, v9
	v_add_co_u32_e64 v16, s[2:3], 1, v3
	v_cndmask_b32_e64 v13, 0, -1, vcc
	v_cmp_le_u32_e32 vcc, s34, v8
	v_addc_co_u32_e64 v17, s[2:3], 0, v10, s[2:3]
	v_cndmask_b32_e64 v8, 0, -1, vcc
	v_cmp_eq_u32_e32 vcc, s35, v9
	v_cmp_ne_u32_e64 s[2:3], 0, v11
	v_cndmask_b32_e32 v8, v13, v8, vcc
	v_cmp_ne_u32_e32 vcc, 0, v8
	v_cndmask_b32_e64 v9, v16, v14, s[2:3]
	v_cndmask_b32_e64 v11, v17, v15, s[2:3]
	v_cndmask_b32_e32 v3, v3, v9, vcc
	v_xor_b32_e32 v9, s30, v12
	v_cndmask_b32_e32 v8, v10, v11, vcc
	v_xor_b32_e32 v3, v3, v9
	v_xor_b32_e32 v10, v8, v9
	v_sub_co_u32_e32 v8, vcc, v3, v9
	v_subb_co_u32_e32 v9, vcc, v10, v9, vcc
.LBB23_7:                               ;   in Loop: Header=BB23_5 Depth=2
	s_andn2_saveexec_b64 s[2:3], s[28:29]
	s_cbranch_execz .LBB23_9
; %bb.8:                                ;   in Loop: Header=BB23_5 Depth=2
	v_cvt_f32_u32_e32 v3, s26
	s_sub_i32 s28, 0, s26
	v_rcp_iflag_f32_e32 v3, v3
	v_mul_f32_e32 v3, 0x4f7ffffe, v3
	v_cvt_u32_f32_e32 v3, v3
	v_mul_lo_u32 v8, s28, v3
	v_mul_hi_u32 v8, v3, v8
	v_add_u32_e32 v3, v3, v8
	v_mul_hi_u32 v3, v6, v3
	v_mul_lo_u32 v8, v3, s26
	v_sub_u32_e32 v8, v6, v8
	v_add_u32_e32 v9, 1, v3
	v_subrev_u32_e32 v10, s26, v8
	v_cmp_le_u32_e32 vcc, s26, v8
	v_cndmask_b32_e32 v8, v8, v10, vcc
	v_cndmask_b32_e32 v3, v3, v9, vcc
	v_add_u32_e32 v9, 1, v3
	v_cmp_le_u32_e32 vcc, s26, v8
	v_cndmask_b32_e32 v8, v3, v9, vcc
	v_mov_b32_e32 v9, v2
.LBB23_9:                               ;   in Loop: Header=BB23_5 Depth=2
	s_or_b64 exec, exec, s[2:3]
	v_mad_u64_u32 v[10:11], s[2:3], v8, s26, 0
	s_load_dwordx2 s[2:3], s[24:25], 0xc8
	v_mul_lo_u32 v3, v9, s26
	v_mul_lo_u32 v12, v8, s27
	v_add3_u32 v3, v11, v12, v3
	v_sub_co_u32_e32 v6, vcc, v6, v10
	s_add_i32 s40, s40, -1
	v_subb_co_u32_e32 v3, vcc, v7, v3, vcc
	s_add_u32 s24, s24, -8
	s_waitcnt lgkmcnt(0)
	v_mul_lo_u32 v3, s2, v3
	v_mul_lo_u32 v7, s3, v6
	v_mad_u64_u32 v[4:5], s[2:3], s2, v6, v[4:5]
	s_addc_u32 s25, s25, -1
	s_cmp_gt_u32 s40, 2
	v_add3_u32 v5, v7, v5, v3
	s_cbranch_scc0 .LBB23_11
; %bb.10:                               ;   in Loop: Header=BB23_5 Depth=2
	v_pk_mov_b32 v[6:7], v[8:9], v[8:9] op_sel:[0,1]
	s_branch .LBB23_5
.LBB23_11:                              ;   in Loop: Header=BB23_4 Depth=1
	s_waitcnt lgkmcnt(0)
	v_pk_mov_b32 v[6:7], s[20:21], s[20:21] op_sel:[0,1]
	v_mad_u64_u32 v[6:7], s[2:3], s18, v8, v[6:7]
	v_mul_lo_u32 v3, s18, v9
	v_mul_lo_u32 v8, s19, v8
	v_add3_u32 v3, v8, v7, v3
	v_add_co_u32_e32 v4, vcc, v6, v4
	v_addc_co_u32_e32 v5, vcc, v3, v5, vcc
	global_load_sbyte v3, v[4:5], off
	s_waitcnt vmcnt(0)
	v_bfe_i32 v4, v3, 0, 16
	v_ashrrev_i32_e32 v5, 31, v4
	v_cmp_le_i64_e32 vcc, s[10:11], v[4:5]
	v_cmp_ge_i64_e64 s[2:3], s[12:13], v[4:5]
	s_and_b64 s[2:3], vcc, s[2:3]
	s_and_saveexec_b64 s[24:25], s[2:3]
	s_cbranch_execz .LBB23_3
; %bb.12:                               ;   in Loop: Header=BB23_4 Depth=1
	v_mov_b32_e32 v3, s11
	v_subrev_co_u32_e32 v4, vcc, s10, v4
	v_subb_co_u32_e32 v3, vcc, v5, v3, vcc
	v_mul_lo_u32 v3, v3, s8
	v_mul_lo_u32 v6, v4, s9
	v_mad_u64_u32 v[4:5], s[2:3], v4, s8, 0
	v_add3_u32 v5, v5, v6, v3
	v_or_b32_e32 v3, s36, v5
	v_cmp_ne_u64_e32 vcc, 0, v[2:3]
                                        ; implicit-def: $vgpr6_vgpr7
	s_and_saveexec_b64 s[2:3], vcc
	s_xor_b64 s[26:27], exec, s[2:3]
	s_cbranch_execz .LBB23_14
; %bb.13:                               ;   in Loop: Header=BB23_4 Depth=1
	s_ashr_i32 s28, s36, 31
	s_add_u32 s2, s33, s28
	s_mov_b32 s29, s28
	s_addc_u32 s3, s36, s28
	s_xor_b64 s[30:31], s[2:3], s[28:29]
	v_cvt_f32_u32_e32 v3, s30
	v_cvt_f32_u32_e32 v6, s31
	s_sub_u32 s2, 0, s30
	s_subb_u32 s3, 0, s31
	v_mac_f32_e32 v3, 0x4f800000, v6
	v_rcp_f32_e32 v3, v3
	v_mul_f32_e32 v3, 0x5f7ffffc, v3
	v_mul_f32_e32 v6, 0x2f800000, v3
	v_trunc_f32_e32 v6, v6
	v_mac_f32_e32 v3, 0xcf800000, v6
	v_cvt_u32_f32_e32 v6, v6
	v_cvt_u32_f32_e32 v3, v3
	v_mul_lo_u32 v7, s2, v6
	v_mul_hi_u32 v9, s2, v3
	v_mul_lo_u32 v8, s3, v3
	v_add_u32_e32 v7, v9, v7
	v_mul_lo_u32 v10, s2, v3
	v_add_u32_e32 v7, v7, v8
	v_mul_lo_u32 v9, v3, v7
	v_mul_hi_u32 v11, v3, v10
	v_mul_hi_u32 v8, v3, v7
	v_add_co_u32_e32 v9, vcc, v11, v9
	v_addc_co_u32_e32 v8, vcc, 0, v8, vcc
	v_mul_hi_u32 v12, v6, v10
	v_mul_lo_u32 v10, v6, v10
	v_add_co_u32_e32 v9, vcc, v9, v10
	v_mul_hi_u32 v11, v6, v7
	v_addc_co_u32_e32 v8, vcc, v8, v12, vcc
	v_addc_co_u32_e32 v9, vcc, 0, v11, vcc
	v_mul_lo_u32 v7, v6, v7
	v_add_co_u32_e32 v7, vcc, v8, v7
	v_addc_co_u32_e32 v8, vcc, 0, v9, vcc
	v_add_co_u32_e32 v3, vcc, v3, v7
	v_addc_co_u32_e32 v6, vcc, v6, v8, vcc
	v_mul_lo_u32 v7, s2, v6
	v_mul_hi_u32 v8, s2, v3
	v_add_u32_e32 v7, v8, v7
	v_mul_lo_u32 v8, s3, v3
	v_add_u32_e32 v7, v7, v8
	v_mul_lo_u32 v9, s2, v3
	v_mul_hi_u32 v10, v6, v9
	v_mul_lo_u32 v11, v6, v9
	v_mul_lo_u32 v13, v3, v7
	v_mul_hi_u32 v9, v3, v9
	v_mul_hi_u32 v12, v3, v7
	v_add_co_u32_e32 v9, vcc, v9, v13
	v_addc_co_u32_e32 v12, vcc, 0, v12, vcc
	v_add_co_u32_e32 v9, vcc, v9, v11
	v_mul_hi_u32 v8, v6, v7
	v_addc_co_u32_e32 v9, vcc, v12, v10, vcc
	v_addc_co_u32_e32 v8, vcc, 0, v8, vcc
	v_mul_lo_u32 v7, v6, v7
	v_add_co_u32_e32 v7, vcc, v9, v7
	v_addc_co_u32_e32 v8, vcc, 0, v8, vcc
	v_add_co_u32_e32 v3, vcc, v3, v7
	v_addc_co_u32_e32 v6, vcc, v6, v8, vcc
	v_ashrrev_i32_e32 v8, 31, v5
	v_add_co_u32_e32 v4, vcc, v4, v8
	v_addc_co_u32_e32 v5, vcc, v5, v8, vcc
	v_xor_b32_e32 v10, v4, v8
	v_xor_b32_e32 v9, v5, v8
	v_mad_u64_u32 v[4:5], s[2:3], v10, v6, 0
	v_mul_hi_u32 v7, v10, v3
	v_add_co_u32_e32 v11, vcc, v7, v4
	v_addc_co_u32_e32 v12, vcc, 0, v5, vcc
	v_mad_u64_u32 v[4:5], s[2:3], v9, v6, 0
	v_mad_u64_u32 v[6:7], s[2:3], v9, v3, 0
	v_add_co_u32_e32 v3, vcc, v11, v6
	v_addc_co_u32_e32 v3, vcc, v12, v7, vcc
	v_addc_co_u32_e32 v5, vcc, 0, v5, vcc
	v_add_co_u32_e32 v3, vcc, v3, v4
	v_addc_co_u32_e32 v4, vcc, 0, v5, vcc
	v_mul_lo_u32 v6, s31, v3
	v_mul_lo_u32 v7, s30, v4
	v_mad_u64_u32 v[4:5], s[2:3], s30, v3, 0
	v_add3_u32 v5, v5, v7, v6
	v_sub_u32_e32 v6, v9, v5
	v_mov_b32_e32 v7, s31
	v_sub_co_u32_e32 v4, vcc, v10, v4
	v_subb_co_u32_e64 v6, s[2:3], v6, v7, vcc
	v_subrev_co_u32_e64 v7, s[2:3], s30, v4
	v_subbrev_co_u32_e64 v6, s[2:3], 0, v6, s[2:3]
	v_cmp_le_u32_e64 s[2:3], s31, v6
	v_subb_co_u32_e32 v5, vcc, v9, v5, vcc
	v_cndmask_b32_e64 v10, 0, -1, s[2:3]
	v_cmp_le_u32_e64 s[2:3], s30, v7
	v_cmp_le_u32_e32 vcc, s31, v5
	v_cndmask_b32_e64 v7, 0, -1, s[2:3]
	v_cmp_eq_u32_e64 s[2:3], s31, v6
	v_cndmask_b32_e64 v9, 0, -1, vcc
	v_cmp_le_u32_e32 vcc, s30, v4
	v_cndmask_b32_e64 v6, v10, v7, s[2:3]
	v_cndmask_b32_e64 v4, 0, -1, vcc
	v_cmp_eq_u32_e32 vcc, s31, v5
	v_add_co_u32_e64 v7, s[2:3], 2, v3
	v_add_co_u32_e64 v10, s[2:3], 1, v3
	v_cndmask_b32_e32 v4, v9, v4, vcc
	v_cmp_ne_u32_e32 vcc, 0, v6
	v_cndmask_b32_e32 v5, v10, v7, vcc
	v_cmp_ne_u32_e32 vcc, 0, v4
	v_cndmask_b32_e32 v3, v3, v5, vcc
	v_xor_b32_e32 v4, s28, v8
	v_xor_b32_e32 v3, v3, v4
	v_sub_co_u32_e32 v6, vcc, v3, v4
                                        ; implicit-def: $vgpr4_vgpr5
.LBB23_14:                              ;   in Loop: Header=BB23_4 Depth=1
	s_andn2_saveexec_b64 s[2:3], s[26:27]
	s_cbranch_execz .LBB23_2
; %bb.15:                               ;   in Loop: Header=BB23_4 Depth=1
	v_cvt_f32_u32_e32 v3, s33
	s_sub_i32 s26, 0, s33
	v_rcp_iflag_f32_e32 v3, v3
	v_mul_f32_e32 v3, 0x4f7ffffe, v3
	v_cvt_u32_f32_e32 v3, v3
	v_mul_lo_u32 v5, s26, v3
	v_mul_hi_u32 v5, v3, v5
	v_add_u32_e32 v3, v3, v5
	v_mul_hi_u32 v3, v4, v3
	v_mul_lo_u32 v5, v3, s33
	v_sub_u32_e32 v4, v4, v5
	v_add_u32_e32 v6, 1, v3
	v_subrev_u32_e32 v5, s33, v4
	v_cmp_le_u32_e32 vcc, s33, v4
	v_cndmask_b32_e32 v4, v4, v5, vcc
	v_cndmask_b32_e32 v3, v3, v6, vcc
	v_add_u32_e32 v5, 1, v3
	v_cmp_le_u32_e32 vcc, s33, v4
	v_cndmask_b32_e32 v6, v3, v5, vcc
	s_branch .LBB23_2
.LBB23_16:
	s_endpgm
	.section	.rodata,"a",@progbits
	.p2align	6, 0x0
	.amdhsa_kernel _ZN2at4cuda17kernelHistogram1DIdalLi1ELi2ELin1ELNS0_23CUDAHistogramMemoryTypeE1EZNS0_21CUDA_tensor_histogramIdaLb1EEEbNS_6TensorES4_S4_lNS_14AccumulateTypeIT0_Lb1EE4typeES8_NS0_13TensorArgTypeES9_S9_EUllE0_EEvNS0_6detail10TensorInfoIT_T1_EESF_NSC_IKS6_SE_EElS8_S8_SE_T6_
		.amdhsa_group_segment_fixed_size 0
		.amdhsa_private_segment_fixed_size 0
		.amdhsa_kernarg_size 1544
		.amdhsa_user_sgpr_count 6
		.amdhsa_user_sgpr_private_segment_buffer 1
		.amdhsa_user_sgpr_dispatch_ptr 0
		.amdhsa_user_sgpr_queue_ptr 0
		.amdhsa_user_sgpr_kernarg_segment_ptr 1
		.amdhsa_user_sgpr_dispatch_id 0
		.amdhsa_user_sgpr_flat_scratch_init 0
		.amdhsa_user_sgpr_kernarg_preload_length 0
		.amdhsa_user_sgpr_kernarg_preload_offset 0
		.amdhsa_user_sgpr_private_segment_size 0
		.amdhsa_uses_dynamic_stack 0
		.amdhsa_system_sgpr_private_segment_wavefront_offset 0
		.amdhsa_system_sgpr_workgroup_id_x 1
		.amdhsa_system_sgpr_workgroup_id_y 0
		.amdhsa_system_sgpr_workgroup_id_z 0
		.amdhsa_system_sgpr_workgroup_info 0
		.amdhsa_system_vgpr_workitem_id 0
		.amdhsa_next_free_vgpr 18
		.amdhsa_next_free_sgpr 41
		.amdhsa_accum_offset 20
		.amdhsa_reserve_vcc 1
		.amdhsa_reserve_flat_scratch 0
		.amdhsa_float_round_mode_32 0
		.amdhsa_float_round_mode_16_64 0
		.amdhsa_float_denorm_mode_32 3
		.amdhsa_float_denorm_mode_16_64 3
		.amdhsa_dx10_clamp 1
		.amdhsa_ieee_mode 1
		.amdhsa_fp16_overflow 0
		.amdhsa_tg_split 0
		.amdhsa_exception_fp_ieee_invalid_op 0
		.amdhsa_exception_fp_denorm_src 0
		.amdhsa_exception_fp_ieee_div_zero 0
		.amdhsa_exception_fp_ieee_overflow 0
		.amdhsa_exception_fp_ieee_underflow 0
		.amdhsa_exception_fp_ieee_inexact 0
		.amdhsa_exception_int_div_zero 0
	.end_amdhsa_kernel
	.section	.text._ZN2at4cuda17kernelHistogram1DIdalLi1ELi2ELin1ELNS0_23CUDAHistogramMemoryTypeE1EZNS0_21CUDA_tensor_histogramIdaLb1EEEbNS_6TensorES4_S4_lNS_14AccumulateTypeIT0_Lb1EE4typeES8_NS0_13TensorArgTypeES9_S9_EUllE0_EEvNS0_6detail10TensorInfoIT_T1_EESF_NSC_IKS6_SE_EElS8_S8_SE_T6_,"axG",@progbits,_ZN2at4cuda17kernelHistogram1DIdalLi1ELi2ELin1ELNS0_23CUDAHistogramMemoryTypeE1EZNS0_21CUDA_tensor_histogramIdaLb1EEEbNS_6TensorES4_S4_lNS_14AccumulateTypeIT0_Lb1EE4typeES8_NS0_13TensorArgTypeES9_S9_EUllE0_EEvNS0_6detail10TensorInfoIT_T1_EESF_NSC_IKS6_SE_EElS8_S8_SE_T6_,comdat
.Lfunc_end23:
	.size	_ZN2at4cuda17kernelHistogram1DIdalLi1ELi2ELin1ELNS0_23CUDAHistogramMemoryTypeE1EZNS0_21CUDA_tensor_histogramIdaLb1EEEbNS_6TensorES4_S4_lNS_14AccumulateTypeIT0_Lb1EE4typeES8_NS0_13TensorArgTypeES9_S9_EUllE0_EEvNS0_6detail10TensorInfoIT_T1_EESF_NSC_IKS6_SE_EElS8_S8_SE_T6_, .Lfunc_end23-_ZN2at4cuda17kernelHistogram1DIdalLi1ELi2ELin1ELNS0_23CUDAHistogramMemoryTypeE1EZNS0_21CUDA_tensor_histogramIdaLb1EEEbNS_6TensorES4_S4_lNS_14AccumulateTypeIT0_Lb1EE4typeES8_NS0_13TensorArgTypeES9_S9_EUllE0_EEvNS0_6detail10TensorInfoIT_T1_EESF_NSC_IKS6_SE_EElS8_S8_SE_T6_
                                        ; -- End function
	.section	.AMDGPU.csdata,"",@progbits
; Kernel info:
; codeLenInByte = 2212
; NumSgprs: 45
; NumVgprs: 18
; NumAgprs: 0
; TotalNumVgprs: 18
; ScratchSize: 0
; MemoryBound: 0
; FloatMode: 240
; IeeeMode: 1
; LDSByteSize: 0 bytes/workgroup (compile time only)
; SGPRBlocks: 5
; VGPRBlocks: 2
; NumSGPRsForWavesPerEU: 45
; NumVGPRsForWavesPerEU: 18
; AccumOffset: 20
; Occupancy: 8
; WaveLimiterHint : 1
; COMPUTE_PGM_RSRC2:SCRATCH_EN: 0
; COMPUTE_PGM_RSRC2:USER_SGPR: 6
; COMPUTE_PGM_RSRC2:TRAP_HANDLER: 0
; COMPUTE_PGM_RSRC2:TGID_X_EN: 1
; COMPUTE_PGM_RSRC2:TGID_Y_EN: 0
; COMPUTE_PGM_RSRC2:TGID_Z_EN: 0
; COMPUTE_PGM_RSRC2:TIDIG_COMP_CNT: 0
; COMPUTE_PGM_RSRC3_GFX90A:ACCUM_OFFSET: 4
; COMPUTE_PGM_RSRC3_GFX90A:TG_SPLIT: 0
	.section	.text._ZN2at4cuda17kernelHistogram1DIfilLi1ELi2ELin1ELNS0_23CUDAHistogramMemoryTypeE0EZNS0_21CUDA_tensor_histogramIfiLb1EEEbNS_6TensorES4_S4_lNS_14AccumulateTypeIT0_Lb1EE4typeES8_NS0_13TensorArgTypeES9_S9_EUllE_EEvNS0_6detail10TensorInfoIT_T1_EESF_NSC_IKS6_SE_EElS8_S8_SE_T6_,"axG",@progbits,_ZN2at4cuda17kernelHistogram1DIfilLi1ELi2ELin1ELNS0_23CUDAHistogramMemoryTypeE0EZNS0_21CUDA_tensor_histogramIfiLb1EEEbNS_6TensorES4_S4_lNS_14AccumulateTypeIT0_Lb1EE4typeES8_NS0_13TensorArgTypeES9_S9_EUllE_EEvNS0_6detail10TensorInfoIT_T1_EESF_NSC_IKS6_SE_EElS8_S8_SE_T6_,comdat
	.protected	_ZN2at4cuda17kernelHistogram1DIfilLi1ELi2ELin1ELNS0_23CUDAHistogramMemoryTypeE0EZNS0_21CUDA_tensor_histogramIfiLb1EEEbNS_6TensorES4_S4_lNS_14AccumulateTypeIT0_Lb1EE4typeES8_NS0_13TensorArgTypeES9_S9_EUllE_EEvNS0_6detail10TensorInfoIT_T1_EESF_NSC_IKS6_SE_EElS8_S8_SE_T6_ ; -- Begin function _ZN2at4cuda17kernelHistogram1DIfilLi1ELi2ELin1ELNS0_23CUDAHistogramMemoryTypeE0EZNS0_21CUDA_tensor_histogramIfiLb1EEEbNS_6TensorES4_S4_lNS_14AccumulateTypeIT0_Lb1EE4typeES8_NS0_13TensorArgTypeES9_S9_EUllE_EEvNS0_6detail10TensorInfoIT_T1_EESF_NSC_IKS6_SE_EElS8_S8_SE_T6_
	.globl	_ZN2at4cuda17kernelHistogram1DIfilLi1ELi2ELin1ELNS0_23CUDAHistogramMemoryTypeE0EZNS0_21CUDA_tensor_histogramIfiLb1EEEbNS_6TensorES4_S4_lNS_14AccumulateTypeIT0_Lb1EE4typeES8_NS0_13TensorArgTypeES9_S9_EUllE_EEvNS0_6detail10TensorInfoIT_T1_EESF_NSC_IKS6_SE_EElS8_S8_SE_T6_
	.p2align	8
	.type	_ZN2at4cuda17kernelHistogram1DIfilLi1ELi2ELin1ELNS0_23CUDAHistogramMemoryTypeE0EZNS0_21CUDA_tensor_histogramIfiLb1EEEbNS_6TensorES4_S4_lNS_14AccumulateTypeIT0_Lb1EE4typeES8_NS0_13TensorArgTypeES9_S9_EUllE_EEvNS0_6detail10TensorInfoIT_T1_EESF_NSC_IKS6_SE_EElS8_S8_SE_T6_,@function
_ZN2at4cuda17kernelHistogram1DIfilLi1ELi2ELin1ELNS0_23CUDAHistogramMemoryTypeE0EZNS0_21CUDA_tensor_histogramIfiLb1EEEbNS_6TensorES4_S4_lNS_14AccumulateTypeIT0_Lb1EE4typeES8_NS0_13TensorArgTypeES9_S9_EUllE_EEvNS0_6detail10TensorInfoIT_T1_EESF_NSC_IKS6_SE_EElS8_S8_SE_T6_: ; @_ZN2at4cuda17kernelHistogram1DIfilLi1ELi2ELin1ELNS0_23CUDAHistogramMemoryTypeE0EZNS0_21CUDA_tensor_histogramIfiLb1EEEbNS_6TensorES4_S4_lNS_14AccumulateTypeIT0_Lb1EE4typeES8_NS0_13TensorArgTypeES9_S9_EUllE_EEvNS0_6detail10TensorInfoIT_T1_EESF_NSC_IKS6_SE_EElS8_S8_SE_T6_
; %bb.0:
	s_load_dwordx4 s[16:19], s[4:5], 0x0
	s_load_dwordx2 s[22:23], s[4:5], 0x500
	s_load_dwordx8 s[8:15], s[4:5], 0x4e0
	v_mov_b32_e32 v1, 0
	s_add_u32 s26, s4, 0x6a0
	s_waitcnt lgkmcnt(0)
	v_cmp_gt_i64_e64 s[0:1], s[18:19], v[0:1]
	v_cmp_le_i64_e32 vcc, s[18:19], v[0:1]
	s_addc_u32 s27, s5, 0
                                        ; implicit-def: $sgpr7
	s_and_saveexec_b64 s[2:3], vcc
	s_xor_b64 s[2:3], exec, s[2:3]
	s_cbranch_execz .LBB24_2
; %bb.1:
	s_load_dword s7, s[26:27], 0xc
.LBB24_2:
	s_or_saveexec_b64 s[28:29], s[2:3]
	s_load_dwordx2 s[20:21], s[4:5], 0xd0
	s_load_dwordx2 s[24:25], s[4:5], 0x5d0
	s_waitcnt lgkmcnt(0)
	v_mov_b32_e32 v4, s7
	s_xor_b64 exec, exec, s[28:29]
	s_cbranch_execz .LBB24_16
; %bb.3:
	s_load_dword s7, s[26:27], 0xc
	v_mov_b32_e32 v2, s19
	s_mov_b32 s34, 0
	s_waitcnt lgkmcnt(0)
	s_and_b32 s33, s7, 0xffff
	v_add_co_u32_e32 v4, vcc, s33, v0
	v_addc_co_u32_e64 v5, s[2:3], 0, 0, vcc
	v_cmp_gt_i64_e32 vcc, s[18:19], v[4:5]
	v_cndmask_b32_e32 v6, v5, v2, vcc
	v_mov_b32_e32 v2, s18
	v_cndmask_b32_e32 v3, v4, v2, vcc
	v_cndmask_b32_e64 v2, 0, 1, vcc
	v_add_co_u32_e32 v4, vcc, v4, v2
	v_addc_co_u32_e32 v5, vcc, 0, v5, vcc
	v_sub_co_u32_e32 v3, vcc, v3, v4
	v_subb_co_u32_e32 v5, vcc, v6, v5, vcc
	v_mov_b32_e32 v4, 0
	v_cmp_ne_u64_e32 vcc, 0, v[4:5]
                                        ; implicit-def: $vgpr6_vgpr7
	s_and_saveexec_b64 s[2:3], vcc
	s_xor_b64 s[30:31], exec, s[2:3]
	s_cbranch_execz .LBB24_5
; %bb.4:
	v_cvt_f32_u32_e32 v4, s33
	v_mov_b32_e32 v6, 0x4f800000
	s_sub_u32 s2, 0, s33
	s_subb_u32 s3, 0, 0
	v_mac_f32_e32 v4, 0, v6
	v_rcp_f32_e32 v4, v4
	v_mul_f32_e32 v4, 0x5f7ffffc, v4
	v_mul_f32_e32 v6, 0x2f800000, v4
	v_trunc_f32_e32 v6, v6
	v_madmk_f32 v4, v6, 0xcf800000, v4
	v_cvt_u32_f32_e32 v6, v6
	v_cvt_u32_f32_e32 v4, v4
	v_mul_lo_u32 v7, s2, v6
	v_mul_hi_u32 v9, s2, v4
	v_mul_lo_u32 v8, s3, v4
	v_add_u32_e32 v7, v9, v7
	v_mul_lo_u32 v10, s2, v4
	v_add_u32_e32 v7, v7, v8
	v_mul_hi_u32 v9, v4, v10
	v_mul_lo_u32 v11, v4, v7
	v_mul_hi_u32 v8, v4, v7
	v_add_co_u32_e32 v9, vcc, v9, v11
	v_addc_co_u32_e32 v8, vcc, 0, v8, vcc
	v_mul_hi_u32 v12, v6, v10
	v_mul_lo_u32 v10, v6, v10
	v_add_co_u32_e32 v9, vcc, v9, v10
	v_mul_hi_u32 v11, v6, v7
	v_addc_co_u32_e32 v8, vcc, v8, v12, vcc
	v_addc_co_u32_e32 v9, vcc, 0, v11, vcc
	v_mul_lo_u32 v7, v6, v7
	v_add_co_u32_e32 v7, vcc, v8, v7
	v_addc_co_u32_e32 v8, vcc, 0, v9, vcc
	v_add_co_u32_e32 v4, vcc, v4, v7
	v_addc_co_u32_e32 v6, vcc, v6, v8, vcc
	v_mul_lo_u32 v7, s2, v6
	v_mul_hi_u32 v8, s2, v4
	v_add_u32_e32 v7, v8, v7
	v_mul_lo_u32 v8, s3, v4
	v_add_u32_e32 v7, v7, v8
	v_mul_lo_u32 v9, s2, v4
	v_mul_hi_u32 v10, v6, v9
	v_mul_lo_u32 v11, v6, v9
	v_mul_lo_u32 v13, v4, v7
	v_mul_hi_u32 v9, v4, v9
	v_mul_hi_u32 v12, v4, v7
	v_add_co_u32_e32 v9, vcc, v9, v13
	v_addc_co_u32_e32 v12, vcc, 0, v12, vcc
	v_add_co_u32_e32 v9, vcc, v9, v11
	v_mul_hi_u32 v8, v6, v7
	v_addc_co_u32_e32 v9, vcc, v12, v10, vcc
	v_addc_co_u32_e32 v8, vcc, 0, v8, vcc
	v_mul_lo_u32 v7, v6, v7
	v_add_co_u32_e32 v7, vcc, v9, v7
	v_addc_co_u32_e32 v8, vcc, 0, v8, vcc
	v_add_co_u32_e32 v4, vcc, v4, v7
	v_addc_co_u32_e32 v8, vcc, v6, v8, vcc
	v_mad_u64_u32 v[6:7], s[2:3], v3, v8, 0
	v_mul_hi_u32 v9, v3, v4
	v_add_co_u32_e32 v10, vcc, v9, v6
	v_addc_co_u32_e32 v11, vcc, 0, v7, vcc
	v_mad_u64_u32 v[6:7], s[2:3], v5, v8, 0
	v_mad_u64_u32 v[8:9], s[2:3], v5, v4, 0
	v_add_co_u32_e32 v4, vcc, v10, v8
	v_addc_co_u32_e32 v4, vcc, v11, v9, vcc
	v_addc_co_u32_e32 v7, vcc, 0, v7, vcc
	v_add_co_u32_e32 v10, vcc, v4, v6
	v_addc_co_u32_e32 v11, vcc, 0, v7, vcc
	v_mad_u64_u32 v[6:7], s[2:3], s33, v10, 0
	v_mov_b32_e32 v4, v7
	v_mad_u64_u32 v[8:9], s[2:3], s33, v11, v[4:5]
	v_sub_co_u32_e32 v3, vcc, v3, v6
	v_subb_co_u32_e32 v4, vcc, v5, v8, vcc
	v_subrev_co_u32_e32 v5, vcc, s33, v3
	v_subbrev_co_u32_e32 v6, vcc, 0, v4, vcc
	v_cmp_le_u32_e32 vcc, s33, v5
	v_cndmask_b32_e64 v5, 0, -1, vcc
	v_cmp_eq_u32_e32 vcc, 0, v6
	v_cndmask_b32_e32 v5, -1, v5, vcc
	v_add_co_u32_e32 v6, vcc, 2, v10
	v_addc_co_u32_e32 v7, vcc, 0, v11, vcc
	v_add_co_u32_e32 v8, vcc, 1, v10
	v_cmp_le_u32_e64 s[2:3], s33, v3
	v_addc_co_u32_e32 v9, vcc, 0, v11, vcc
	v_cndmask_b32_e64 v3, 0, -1, s[2:3]
	v_cmp_eq_u32_e64 s[2:3], 0, v4
	v_cmp_ne_u32_e32 vcc, 0, v5
	v_cndmask_b32_e64 v3, -1, v3, s[2:3]
	v_cndmask_b32_e32 v5, v9, v7, vcc
	v_cmp_ne_u32_e64 s[2:3], 0, v3
	v_cndmask_b32_e32 v3, v8, v6, vcc
	v_cndmask_b32_e64 v7, v11, v5, s[2:3]
	v_cndmask_b32_e64 v6, v10, v3, s[2:3]
                                        ; implicit-def: $vgpr3
.LBB24_5:
	s_andn2_saveexec_b64 s[2:3], s[30:31]
	s_cbranch_execz .LBB24_7
; %bb.6:
	v_cvt_f32_u32_e32 v4, s33
	s_sub_i32 s30, 0, s33
	v_mov_b32_e32 v7, 0
	v_rcp_iflag_f32_e32 v4, v4
	v_mul_f32_e32 v4, 0x4f7ffffe, v4
	v_cvt_u32_f32_e32 v4, v4
	v_mul_lo_u32 v5, s30, v4
	v_mul_hi_u32 v5, v4, v5
	v_add_u32_e32 v4, v4, v5
	v_mul_hi_u32 v4, v3, v4
	v_mul_lo_u32 v5, v4, s33
	v_sub_u32_e32 v3, v3, v5
	v_add_u32_e32 v6, 1, v4
	v_subrev_u32_e32 v5, s33, v3
	v_cmp_le_u32_e32 vcc, s33, v3
	v_cndmask_b32_e32 v3, v3, v5, vcc
	v_cndmask_b32_e32 v4, v4, v6, vcc
	v_add_u32_e32 v5, 1, v4
	v_cmp_le_u32_e32 vcc, s33, v3
	v_cndmask_b32_e32 v6, v4, v5, vcc
.LBB24_7:
	s_or_b64 exec, exec, s[2:3]
	v_add_co_u32_e32 v2, vcc, v6, v2
	v_addc_co_u32_e32 v3, vcc, 0, v7, vcc
	v_add_co_u32_e32 v4, vcc, 1, v2
	v_addc_co_u32_e32 v5, vcc, 0, v3, vcc
	v_cmp_lt_u64_e32 vcc, 1, v[4:5]
	v_cmp_eq_u16_e64 s[2:3], s7, 1
	s_and_b64 s[36:37], vcc, s[2:3]
	s_mov_b64 s[30:31], -1
	v_pk_mov_b32 v[2:3], v[0:1], v[0:1] op_sel:[0,1]
                                        ; implicit-def: $sgpr35
	s_and_saveexec_b64 s[2:3], s[36:37]
	s_cbranch_execz .LBB24_11
; %bb.8:
	v_and_b32_e32 v6, -2, v4
	v_mov_b32_e32 v7, v5
	v_lshl_add_u32 v8, v0, 2, 0
	s_mov_b64 s[30:31], 0
	v_mov_b32_e32 v9, 0
	v_pk_mov_b32 v[2:3], v[6:7], v[6:7] op_sel:[0,1]
.LBB24_9:                               ; =>This Inner Loop Header: Depth=1
	v_add_co_u32_e32 v2, vcc, -2, v2
	v_addc_co_u32_e32 v3, vcc, -1, v3, vcc
	v_cmp_eq_u64_e32 vcc, 0, v[2:3]
	ds_write2_b32 v8, v9, v9 offset1:1
	s_or_b64 s[30:31], vcc, s[30:31]
	v_add_u32_e32 v8, 8, v8
	s_andn2_b64 exec, exec, s[30:31]
	s_cbranch_execnz .LBB24_9
; %bb.10:
	s_or_b64 exec, exec, s[30:31]
	v_mad_u64_u32 v[2:3], s[30:31], v6, s33, v[0:1]
	v_mov_b32_e32 v8, v3
	v_mad_u64_u32 v[8:9], s[30:31], v7, s33, v[8:9]
	v_cmp_ne_u64_e32 vcc, v[4:5], v[6:7]
	v_mov_b32_e32 v3, v8
	s_mov_b32 s35, 1
	s_orn2_b64 s[30:31], vcc, exec
.LBB24_11:
	s_or_b64 exec, exec, s[2:3]
	v_mov_b32_e32 v4, s35
	s_and_saveexec_b64 s[2:3], s[30:31]
	s_cbranch_execz .LBB24_15
; %bb.12:
	v_lshl_add_u32 v4, v2, 2, 0
	s_lshl_b32 s35, s33, 2
	s_mov_b64 s[30:31], 0
	v_mov_b32_e32 v5, 0
	v_mov_b32_e32 v6, s34
.LBB24_13:                              ; =>This Inner Loop Header: Depth=1
	v_add_co_u32_e32 v2, vcc, s33, v2
	v_addc_co_u32_e32 v3, vcc, v3, v6, vcc
	v_cmp_le_i64_e32 vcc, s[18:19], v[2:3]
	ds_write_b32 v4, v5
	s_or_b64 s[30:31], vcc, s[30:31]
	v_add_u32_e32 v4, s35, v4
	s_andn2_b64 exec, exec, s[30:31]
	s_cbranch_execnz .LBB24_13
; %bb.14:
	s_or_b64 exec, exec, s[30:31]
	v_mov_b32_e32 v4, s7
.LBB24_15:
	s_or_b64 exec, exec, s[2:3]
.LBB24_16:
	s_or_b64 exec, exec, s[28:29]
	v_and_b32_e32 v2, 0xffff, v4
	v_mad_u64_u32 v[4:5], s[2:3], s6, v2, v[0:1]
	v_mov_b32_e32 v6, 0
	v_mov_b32_e32 v5, v6
	v_cmp_gt_i64_e32 vcc, s[14:15], v[4:5]
	s_waitcnt lgkmcnt(0)
	s_barrier
	s_waitcnt lgkmcnt(0)
                                        ; kill: def $vgpr3 killed $sgpr0 killed $exec
	s_and_saveexec_b64 s[6:7], vcc
	s_cbranch_execz .LBB24_32
; %bb.17:
	s_load_dword s30, s[4:5], 0x4d8
	s_add_u32 s31, s4, 0x340
	s_addc_u32 s35, s5, 0
	s_load_dword s34, s[26:27], 0x0
	s_load_dwordx2 s[28:29], s[4:5], 0x340
	s_waitcnt lgkmcnt(0)
	v_mul_lo_u32 v8, s34, v2
	s_load_dwordx2 s[26:27], s[4:5], 0x410
	s_cmp_gt_i32 s30, 1
	s_cselect_b64 s[2:3], -1, 0
	s_sub_u32 s33, s12, s10
	s_subb_u32 s46, s13, s11
	s_mov_b32 s5, 0
	s_add_i32 s4, s30, -1
	s_add_i32 s47, s30, 1
	s_lshl_b64 s[4:5], s[4:5], 3
	s_add_u32 s4, s4, s31
	s_addc_u32 s5, s5, s35
	s_add_u32 s30, s4, 8
	v_cndmask_b32_e64 v3, 0, 1, s[2:3]
	s_addc_u32 s31, s5, 0
	s_mov_b64 s[34:35], 0
	v_cmp_ne_u32_e64 s[2:3], 1, v3
	s_branch .LBB24_20
.LBB24_18:                              ;   in Loop: Header=BB24_20 Depth=1
	s_or_b64 exec, exec, s[4:5]
	v_mul_lo_u32 v3, v5, s24
	v_mul_lo_u32 v7, v4, s25
	v_mad_u64_u32 v[10:11], s[4:5], v4, s24, 0
	v_add3_u32 v11, v11, v7, v3
	v_lshlrev_b64 v[10:11], 2, v[10:11]
	v_mov_b32_e32 v3, s23
	v_add_co_u32_e32 v10, vcc, s22, v10
	v_addc_co_u32_e32 v11, vcc, v3, v11, vcc
	global_load_dword v3, v[10:11], off
	v_ashrrev_i32_e32 v13, 31, v12
	v_cmp_eq_u64_e32 vcc, s[8:9], v[12:13]
	v_subbrev_co_u32_e32 v7, vcc, 0, v12, vcc
	v_lshl_add_u32 v7, v7, 2, 0
	s_waitcnt vmcnt(0)
	ds_add_f32 v7, v3
	s_waitcnt lgkmcnt(0)
.LBB24_19:                              ;   in Loop: Header=BB24_20 Depth=1
	s_or_b64 exec, exec, s[36:37]
	v_add_co_u32_e32 v4, vcc, v4, v8
	v_addc_co_u32_e32 v5, vcc, 0, v5, vcc
	v_cmp_le_i64_e32 vcc, s[14:15], v[4:5]
	s_or_b64 s[34:35], vcc, s[34:35]
	s_andn2_b64 exec, exec, s[34:35]
	s_cbranch_execz .LBB24_32
.LBB24_20:                              ; =>This Loop Header: Depth=1
                                        ;     Child Loop BB24_21 Depth 2
	s_and_b64 vcc, exec, s[2:3]
	v_pk_mov_b32 v[10:11], 0, 0
	s_mov_b64 s[36:37], s[30:31]
	s_mov_b32 s48, s47
	v_pk_mov_b32 v[12:13], v[4:5], v[4:5] op_sel:[0,1]
	v_pk_mov_b32 v[14:15], v[4:5], v[4:5] op_sel:[0,1]
	s_cbranch_vccnz .LBB24_27
.LBB24_21:                              ;   Parent Loop BB24_20 Depth=1
                                        ; =>  This Inner Loop Header: Depth=2
	s_load_dwordx2 s[38:39], s[36:37], 0x0
                                        ; implicit-def: $vgpr14_vgpr15
	s_waitcnt lgkmcnt(0)
	v_or_b32_e32 v7, s39, v13
	v_cmp_ne_u64_e32 vcc, 0, v[6:7]
	s_and_saveexec_b64 s[4:5], vcc
	s_xor_b64 s[40:41], exec, s[4:5]
	s_cbranch_execz .LBB24_23
; %bb.22:                               ;   in Loop: Header=BB24_21 Depth=2
	s_ashr_i32 s42, s39, 31
	s_add_u32 s4, s38, s42
	s_mov_b32 s43, s42
	s_addc_u32 s5, s39, s42
	s_xor_b64 s[44:45], s[4:5], s[42:43]
	v_cvt_f32_u32_e32 v3, s44
	v_cvt_f32_u32_e32 v7, s45
	s_sub_u32 s4, 0, s44
	s_subb_u32 s5, 0, s45
	v_mac_f32_e32 v3, 0x4f800000, v7
	v_rcp_f32_e32 v3, v3
	v_mul_f32_e32 v3, 0x5f7ffffc, v3
	v_mul_f32_e32 v7, 0x2f800000, v3
	v_trunc_f32_e32 v7, v7
	v_mac_f32_e32 v3, 0xcf800000, v7
	v_cvt_u32_f32_e32 v7, v7
	v_cvt_u32_f32_e32 v3, v3
	v_mul_lo_u32 v9, s4, v7
	v_mul_hi_u32 v15, s4, v3
	v_mul_lo_u32 v14, s5, v3
	v_add_u32_e32 v9, v15, v9
	v_mul_lo_u32 v16, s4, v3
	v_add_u32_e32 v9, v9, v14
	v_mul_lo_u32 v15, v3, v9
	v_mul_hi_u32 v17, v3, v16
	v_mul_hi_u32 v14, v3, v9
	v_add_co_u32_e32 v15, vcc, v17, v15
	v_addc_co_u32_e32 v14, vcc, 0, v14, vcc
	v_mul_hi_u32 v18, v7, v16
	v_mul_lo_u32 v16, v7, v16
	v_add_co_u32_e32 v15, vcc, v15, v16
	v_mul_hi_u32 v17, v7, v9
	v_addc_co_u32_e32 v14, vcc, v14, v18, vcc
	v_addc_co_u32_e32 v15, vcc, 0, v17, vcc
	v_mul_lo_u32 v9, v7, v9
	v_add_co_u32_e32 v9, vcc, v14, v9
	v_addc_co_u32_e32 v14, vcc, 0, v15, vcc
	v_add_co_u32_e32 v3, vcc, v3, v9
	v_addc_co_u32_e32 v7, vcc, v7, v14, vcc
	v_mul_lo_u32 v9, s4, v7
	v_mul_hi_u32 v14, s4, v3
	v_add_u32_e32 v9, v14, v9
	v_mul_lo_u32 v14, s5, v3
	v_add_u32_e32 v9, v9, v14
	v_mul_lo_u32 v15, s4, v3
	v_mul_hi_u32 v16, v7, v15
	v_mul_lo_u32 v17, v7, v15
	v_mul_lo_u32 v19, v3, v9
	v_mul_hi_u32 v15, v3, v15
	v_mul_hi_u32 v18, v3, v9
	v_add_co_u32_e32 v15, vcc, v15, v19
	v_addc_co_u32_e32 v18, vcc, 0, v18, vcc
	v_add_co_u32_e32 v15, vcc, v15, v17
	v_mul_hi_u32 v14, v7, v9
	v_addc_co_u32_e32 v15, vcc, v18, v16, vcc
	v_addc_co_u32_e32 v14, vcc, 0, v14, vcc
	v_mul_lo_u32 v9, v7, v9
	v_add_co_u32_e32 v9, vcc, v15, v9
	v_addc_co_u32_e32 v14, vcc, 0, v14, vcc
	v_add_co_u32_e32 v3, vcc, v3, v9
	v_addc_co_u32_e32 v7, vcc, v7, v14, vcc
	v_ashrrev_i32_e32 v9, 31, v13
	v_add_co_u32_e32 v14, vcc, v12, v9
	v_addc_co_u32_e32 v15, vcc, v13, v9, vcc
	v_xor_b32_e32 v19, v14, v9
	v_xor_b32_e32 v18, v15, v9
	v_mad_u64_u32 v[14:15], s[4:5], v19, v7, 0
	v_mul_hi_u32 v16, v19, v3
	v_add_co_u32_e32 v20, vcc, v16, v14
	v_addc_co_u32_e32 v21, vcc, 0, v15, vcc
	v_mad_u64_u32 v[16:17], s[4:5], v18, v3, 0
	v_add_co_u32_e32 v3, vcc, v20, v16
	v_mad_u64_u32 v[14:15], s[4:5], v18, v7, 0
	v_addc_co_u32_e32 v3, vcc, v21, v17, vcc
	v_addc_co_u32_e32 v7, vcc, 0, v15, vcc
	v_add_co_u32_e32 v3, vcc, v3, v14
	v_addc_co_u32_e32 v7, vcc, 0, v7, vcc
	v_mul_lo_u32 v16, s45, v3
	v_mul_lo_u32 v17, s44, v7
	v_mad_u64_u32 v[14:15], s[4:5], s44, v3, 0
	v_add3_u32 v15, v15, v17, v16
	v_sub_u32_e32 v16, v18, v15
	v_mov_b32_e32 v17, s45
	v_sub_co_u32_e32 v14, vcc, v19, v14
	v_subb_co_u32_e64 v16, s[4:5], v16, v17, vcc
	v_subrev_co_u32_e64 v17, s[4:5], s44, v14
	v_subbrev_co_u32_e64 v16, s[4:5], 0, v16, s[4:5]
	v_cmp_le_u32_e64 s[4:5], s45, v16
	v_cndmask_b32_e64 v19, 0, -1, s[4:5]
	v_cmp_le_u32_e64 s[4:5], s44, v17
	v_cndmask_b32_e64 v17, 0, -1, s[4:5]
	v_cmp_eq_u32_e64 s[4:5], s45, v16
	v_cndmask_b32_e64 v16, v19, v17, s[4:5]
	v_add_co_u32_e64 v17, s[4:5], 2, v3
	v_subb_co_u32_e32 v15, vcc, v18, v15, vcc
	v_addc_co_u32_e64 v19, s[4:5], 0, v7, s[4:5]
	v_cmp_le_u32_e32 vcc, s45, v15
	v_add_co_u32_e64 v20, s[4:5], 1, v3
	v_cndmask_b32_e64 v18, 0, -1, vcc
	v_cmp_le_u32_e32 vcc, s44, v14
	v_addc_co_u32_e64 v21, s[4:5], 0, v7, s[4:5]
	v_cndmask_b32_e64 v14, 0, -1, vcc
	v_cmp_eq_u32_e32 vcc, s45, v15
	v_cmp_ne_u32_e64 s[4:5], 0, v16
	v_cndmask_b32_e32 v14, v18, v14, vcc
	v_cmp_ne_u32_e32 vcc, 0, v14
	v_cndmask_b32_e64 v14, v20, v17, s[4:5]
	v_cndmask_b32_e64 v16, v21, v19, s[4:5]
	v_cndmask_b32_e32 v3, v3, v14, vcc
	v_xor_b32_e32 v9, s42, v9
	v_cndmask_b32_e32 v7, v7, v16, vcc
	v_xor_b32_e32 v3, v3, v9
	v_xor_b32_e32 v7, v7, v9
	v_sub_co_u32_e32 v14, vcc, v3, v9
	v_subb_co_u32_e32 v15, vcc, v7, v9, vcc
.LBB24_23:                              ;   in Loop: Header=BB24_21 Depth=2
	s_andn2_saveexec_b64 s[4:5], s[40:41]
	s_cbranch_execz .LBB24_25
; %bb.24:                               ;   in Loop: Header=BB24_21 Depth=2
	v_cvt_f32_u32_e32 v3, s38
	s_sub_i32 s40, 0, s38
	v_mov_b32_e32 v15, v6
	v_rcp_iflag_f32_e32 v3, v3
	v_mul_f32_e32 v3, 0x4f7ffffe, v3
	v_cvt_u32_f32_e32 v3, v3
	v_mul_lo_u32 v7, s40, v3
	v_mul_hi_u32 v7, v3, v7
	v_add_u32_e32 v3, v3, v7
	v_mul_hi_u32 v3, v12, v3
	v_mul_lo_u32 v7, v3, s38
	v_sub_u32_e32 v7, v12, v7
	v_add_u32_e32 v9, 1, v3
	v_subrev_u32_e32 v14, s38, v7
	v_cmp_le_u32_e32 vcc, s38, v7
	v_cndmask_b32_e32 v7, v7, v14, vcc
	v_cndmask_b32_e32 v3, v3, v9, vcc
	v_add_u32_e32 v9, 1, v3
	v_cmp_le_u32_e32 vcc, s38, v7
	v_cndmask_b32_e32 v14, v3, v9, vcc
.LBB24_25:                              ;   in Loop: Header=BB24_21 Depth=2
	s_or_b64 exec, exec, s[4:5]
	v_mad_u64_u32 v[16:17], s[4:5], v14, s38, 0
	s_load_dwordx2 s[4:5], s[36:37], 0xc8
	v_mul_lo_u32 v3, v15, s38
	v_mul_lo_u32 v7, v14, s39
	v_add3_u32 v3, v17, v7, v3
	v_sub_co_u32_e32 v7, vcc, v12, v16
	s_add_i32 s48, s48, -1
	v_subb_co_u32_e32 v3, vcc, v13, v3, vcc
	s_add_u32 s36, s36, -8
	s_waitcnt lgkmcnt(0)
	v_mul_lo_u32 v3, s4, v3
	v_mul_lo_u32 v9, s5, v7
	v_mad_u64_u32 v[10:11], s[4:5], s4, v7, v[10:11]
	s_addc_u32 s37, s37, -1
	s_cmp_gt_u32 s48, 2
	v_add3_u32 v11, v9, v11, v3
	s_cbranch_scc0 .LBB24_27
; %bb.26:                               ;   in Loop: Header=BB24_21 Depth=2
	v_pk_mov_b32 v[12:13], v[14:15], v[14:15] op_sel:[0,1]
	s_branch .LBB24_21
.LBB24_27:                              ;   in Loop: Header=BB24_20 Depth=1
	s_waitcnt lgkmcnt(0)
	v_mul_lo_u32 v3, s27, v14
	v_mul_lo_u32 v7, s26, v15
	v_mad_u64_u32 v[12:13], s[4:5], s26, v14, 0
	v_add3_u32 v13, v13, v7, v3
	v_lshlrev_b64 v[12:13], 2, v[12:13]
	v_mov_b32_e32 v3, s29
	v_add_co_u32_e32 v7, vcc, s28, v12
	v_addc_co_u32_e32 v3, vcc, v3, v13, vcc
	v_lshlrev_b64 v[10:11], 2, v[10:11]
	v_add_co_u32_e32 v10, vcc, v7, v10
	v_addc_co_u32_e32 v11, vcc, v3, v11, vcc
	global_load_dword v10, v[10:11], off
	s_waitcnt vmcnt(0)
	v_ashrrev_i32_e32 v11, 31, v10
	v_cmp_le_i64_e32 vcc, s[10:11], v[10:11]
	v_cmp_ge_i64_e64 s[4:5], s[12:13], v[10:11]
	s_and_b64 s[4:5], vcc, s[4:5]
	s_and_saveexec_b64 s[36:37], s[4:5]
	s_cbranch_execz .LBB24_19
; %bb.28:                               ;   in Loop: Header=BB24_20 Depth=1
	v_mov_b32_e32 v3, s11
	v_subrev_co_u32_e32 v7, vcc, s10, v10
	v_subb_co_u32_e32 v3, vcc, v11, v3, vcc
	v_mul_lo_u32 v3, v3, s8
	v_mul_lo_u32 v9, v7, s9
	v_mad_u64_u32 v[10:11], s[4:5], v7, s8, 0
	v_add3_u32 v11, v11, v9, v3
	v_or_b32_e32 v7, s46, v11
	v_cmp_ne_u64_e32 vcc, 0, v[6:7]
                                        ; implicit-def: $vgpr12_vgpr13
	s_and_saveexec_b64 s[4:5], vcc
	s_xor_b64 s[38:39], exec, s[4:5]
	s_cbranch_execz .LBB24_30
; %bb.29:                               ;   in Loop: Header=BB24_20 Depth=1
	s_ashr_i32 s40, s46, 31
	s_add_u32 s4, s33, s40
	s_mov_b32 s41, s40
	s_addc_u32 s5, s46, s40
	s_xor_b64 s[42:43], s[4:5], s[40:41]
	v_cvt_f32_u32_e32 v3, s42
	v_cvt_f32_u32_e32 v7, s43
	s_sub_u32 s4, 0, s42
	s_subb_u32 s5, 0, s43
	v_mac_f32_e32 v3, 0x4f800000, v7
	v_rcp_f32_e32 v3, v3
	v_mul_f32_e32 v3, 0x5f7ffffc, v3
	v_mul_f32_e32 v7, 0x2f800000, v3
	v_trunc_f32_e32 v7, v7
	v_mac_f32_e32 v3, 0xcf800000, v7
	v_cvt_u32_f32_e32 v7, v7
	v_cvt_u32_f32_e32 v3, v3
	v_mul_lo_u32 v9, s4, v7
	v_mul_hi_u32 v13, s4, v3
	v_mul_lo_u32 v12, s5, v3
	v_add_u32_e32 v9, v13, v9
	v_mul_lo_u32 v14, s4, v3
	v_add_u32_e32 v9, v9, v12
	v_mul_lo_u32 v13, v3, v9
	v_mul_hi_u32 v15, v3, v14
	v_mul_hi_u32 v12, v3, v9
	v_add_co_u32_e32 v13, vcc, v15, v13
	v_addc_co_u32_e32 v12, vcc, 0, v12, vcc
	v_mul_hi_u32 v16, v7, v14
	v_mul_lo_u32 v14, v7, v14
	v_add_co_u32_e32 v13, vcc, v13, v14
	v_mul_hi_u32 v15, v7, v9
	v_addc_co_u32_e32 v12, vcc, v12, v16, vcc
	v_addc_co_u32_e32 v13, vcc, 0, v15, vcc
	v_mul_lo_u32 v9, v7, v9
	v_add_co_u32_e32 v9, vcc, v12, v9
	v_addc_co_u32_e32 v12, vcc, 0, v13, vcc
	v_add_co_u32_e32 v3, vcc, v3, v9
	v_addc_co_u32_e32 v7, vcc, v7, v12, vcc
	v_mul_lo_u32 v9, s4, v7
	v_mul_hi_u32 v12, s4, v3
	v_add_u32_e32 v9, v12, v9
	v_mul_lo_u32 v12, s5, v3
	v_add_u32_e32 v9, v9, v12
	v_mul_lo_u32 v13, s4, v3
	v_mul_hi_u32 v14, v7, v13
	v_mul_lo_u32 v15, v7, v13
	v_mul_lo_u32 v17, v3, v9
	v_mul_hi_u32 v13, v3, v13
	v_mul_hi_u32 v16, v3, v9
	v_add_co_u32_e32 v13, vcc, v13, v17
	v_addc_co_u32_e32 v16, vcc, 0, v16, vcc
	v_add_co_u32_e32 v13, vcc, v13, v15
	v_mul_hi_u32 v12, v7, v9
	v_addc_co_u32_e32 v13, vcc, v16, v14, vcc
	v_addc_co_u32_e32 v12, vcc, 0, v12, vcc
	v_mul_lo_u32 v9, v7, v9
	v_add_co_u32_e32 v9, vcc, v13, v9
	v_addc_co_u32_e32 v12, vcc, 0, v12, vcc
	v_add_co_u32_e32 v3, vcc, v3, v9
	v_addc_co_u32_e32 v7, vcc, v7, v12, vcc
	v_ashrrev_i32_e32 v9, 31, v11
	v_add_co_u32_e32 v10, vcc, v10, v9
	v_addc_co_u32_e32 v11, vcc, v11, v9, vcc
	v_xor_b32_e32 v15, v10, v9
	v_xor_b32_e32 v14, v11, v9
	v_mad_u64_u32 v[10:11], s[4:5], v15, v7, 0
	v_mul_hi_u32 v12, v15, v3
	v_add_co_u32_e32 v16, vcc, v12, v10
	v_addc_co_u32_e32 v17, vcc, 0, v11, vcc
	v_mad_u64_u32 v[12:13], s[4:5], v14, v3, 0
	v_add_co_u32_e32 v3, vcc, v16, v12
	v_mad_u64_u32 v[10:11], s[4:5], v14, v7, 0
	v_addc_co_u32_e32 v3, vcc, v17, v13, vcc
	v_addc_co_u32_e32 v7, vcc, 0, v11, vcc
	v_add_co_u32_e32 v3, vcc, v3, v10
	v_addc_co_u32_e32 v7, vcc, 0, v7, vcc
	v_mul_lo_u32 v12, s43, v3
	v_mul_lo_u32 v7, s42, v7
	v_mad_u64_u32 v[10:11], s[4:5], s42, v3, 0
	v_add3_u32 v7, v11, v7, v12
	v_sub_u32_e32 v11, v14, v7
	v_mov_b32_e32 v12, s43
	v_sub_co_u32_e32 v10, vcc, v15, v10
	v_subb_co_u32_e64 v11, s[4:5], v11, v12, vcc
	v_subrev_co_u32_e64 v12, s[4:5], s42, v10
	v_subbrev_co_u32_e64 v11, s[4:5], 0, v11, s[4:5]
	v_cmp_le_u32_e64 s[4:5], s43, v11
	v_subb_co_u32_e32 v7, vcc, v14, v7, vcc
	v_cndmask_b32_e64 v13, 0, -1, s[4:5]
	v_cmp_le_u32_e64 s[4:5], s42, v12
	v_cmp_le_u32_e32 vcc, s43, v7
	v_cndmask_b32_e64 v12, 0, -1, s[4:5]
	v_cmp_eq_u32_e64 s[4:5], s43, v11
	v_cndmask_b32_e64 v14, 0, -1, vcc
	v_cmp_le_u32_e32 vcc, s42, v10
	v_cndmask_b32_e64 v11, v13, v12, s[4:5]
	v_cndmask_b32_e64 v10, 0, -1, vcc
	v_cmp_eq_u32_e32 vcc, s43, v7
	v_add_co_u32_e64 v12, s[4:5], 2, v3
	v_add_co_u32_e64 v13, s[4:5], 1, v3
	v_cndmask_b32_e32 v7, v14, v10, vcc
	v_cmp_ne_u32_e32 vcc, 0, v11
	v_cndmask_b32_e32 v10, v13, v12, vcc
	v_cmp_ne_u32_e32 vcc, 0, v7
	v_cndmask_b32_e32 v3, v3, v10, vcc
	v_xor_b32_e32 v7, s40, v9
	v_xor_b32_e32 v3, v3, v7
	v_sub_co_u32_e32 v12, vcc, v3, v7
                                        ; implicit-def: $vgpr10_vgpr11
.LBB24_30:                              ;   in Loop: Header=BB24_20 Depth=1
	s_andn2_saveexec_b64 s[4:5], s[38:39]
	s_cbranch_execz .LBB24_18
; %bb.31:                               ;   in Loop: Header=BB24_20 Depth=1
	v_cvt_f32_u32_e32 v3, s33
	s_sub_i32 s38, 0, s33
	v_rcp_iflag_f32_e32 v3, v3
	v_mul_f32_e32 v3, 0x4f7ffffe, v3
	v_cvt_u32_f32_e32 v3, v3
	v_mul_lo_u32 v7, s38, v3
	v_mul_hi_u32 v7, v3, v7
	v_add_u32_e32 v3, v3, v7
	v_mul_hi_u32 v3, v10, v3
	v_mul_lo_u32 v7, v3, s33
	v_sub_u32_e32 v7, v10, v7
	v_add_u32_e32 v9, 1, v3
	v_subrev_u32_e32 v10, s33, v7
	v_cmp_le_u32_e32 vcc, s33, v7
	v_cndmask_b32_e32 v7, v7, v10, vcc
	v_cndmask_b32_e32 v3, v3, v9, vcc
	v_add_u32_e32 v9, 1, v3
	v_cmp_le_u32_e32 vcc, s33, v7
	v_cndmask_b32_e32 v12, v3, v9, vcc
	s_branch .LBB24_18
.LBB24_32:
	s_or_b64 exec, exec, s[6:7]
; %bb.33:
	s_barrier
	s_and_saveexec_b64 s[2:3], s[0:1]
	s_cbranch_execz .LBB24_36
; %bb.34:
	v_mad_u64_u32 v[4:5], s[0:1], s20, v0, 0
	v_mov_b32_e32 v6, v5
	v_mad_u64_u32 v[6:7], s[0:1], s21, v0, v[6:7]
	v_mov_b32_e32 v5, v6
	;; [unrolled: 2-line block ×3, first 2 shown]
	v_lshlrev_b64 v[4:5], 2, v[4:5]
	v_mad_u64_u32 v[8:9], s[0:1], s21, v2, v[8:9]
	v_mov_b32_e32 v3, s17
	v_add_co_u32_e32 v4, vcc, s16, v4
	v_mov_b32_e32 v7, v8
	v_addc_co_u32_e32 v5, vcc, v3, v5, vcc
	v_lshlrev_b64 v[6:7], 2, v[6:7]
	v_lshl_add_u32 v3, v0, 2, 0
	v_lshlrev_b32_e32 v8, 2, v2
	s_mov_b64 s[0:1], 0
.LBB24_35:                              ; =>This Inner Loop Header: Depth=1
	ds_read_b32 v9, v3
	v_add_co_u32_e32 v0, vcc, v0, v2
	v_addc_co_u32_e32 v1, vcc, 0, v1, vcc
	s_waitcnt lgkmcnt(0)
	global_atomic_add_f32 v[4:5], v9, off
	v_cmp_le_i64_e32 vcc, s[18:19], v[0:1]
	s_or_b64 s[0:1], vcc, s[0:1]
	v_add_co_u32_e32 v4, vcc, v4, v6
	v_add_u32_e32 v3, v3, v8
	v_addc_co_u32_e32 v5, vcc, v5, v7, vcc
	s_andn2_b64 exec, exec, s[0:1]
	s_cbranch_execnz .LBB24_35
.LBB24_36:
	s_endpgm
	.section	.rodata,"a",@progbits
	.p2align	6, 0x0
	.amdhsa_kernel _ZN2at4cuda17kernelHistogram1DIfilLi1ELi2ELin1ELNS0_23CUDAHistogramMemoryTypeE0EZNS0_21CUDA_tensor_histogramIfiLb1EEEbNS_6TensorES4_S4_lNS_14AccumulateTypeIT0_Lb1EE4typeES8_NS0_13TensorArgTypeES9_S9_EUllE_EEvNS0_6detail10TensorInfoIT_T1_EESF_NSC_IKS6_SE_EElS8_S8_SE_T6_
		.amdhsa_group_segment_fixed_size 0
		.amdhsa_private_segment_fixed_size 0
		.amdhsa_kernarg_size 1952
		.amdhsa_user_sgpr_count 6
		.amdhsa_user_sgpr_private_segment_buffer 1
		.amdhsa_user_sgpr_dispatch_ptr 0
		.amdhsa_user_sgpr_queue_ptr 0
		.amdhsa_user_sgpr_kernarg_segment_ptr 1
		.amdhsa_user_sgpr_dispatch_id 0
		.amdhsa_user_sgpr_flat_scratch_init 0
		.amdhsa_user_sgpr_kernarg_preload_length 0
		.amdhsa_user_sgpr_kernarg_preload_offset 0
		.amdhsa_user_sgpr_private_segment_size 0
		.amdhsa_uses_dynamic_stack 0
		.amdhsa_system_sgpr_private_segment_wavefront_offset 0
		.amdhsa_system_sgpr_workgroup_id_x 1
		.amdhsa_system_sgpr_workgroup_id_y 0
		.amdhsa_system_sgpr_workgroup_id_z 0
		.amdhsa_system_sgpr_workgroup_info 0
		.amdhsa_system_vgpr_workitem_id 0
		.amdhsa_next_free_vgpr 22
		.amdhsa_next_free_sgpr 49
		.amdhsa_accum_offset 24
		.amdhsa_reserve_vcc 1
		.amdhsa_reserve_flat_scratch 0
		.amdhsa_float_round_mode_32 0
		.amdhsa_float_round_mode_16_64 0
		.amdhsa_float_denorm_mode_32 3
		.amdhsa_float_denorm_mode_16_64 3
		.amdhsa_dx10_clamp 1
		.amdhsa_ieee_mode 1
		.amdhsa_fp16_overflow 0
		.amdhsa_tg_split 0
		.amdhsa_exception_fp_ieee_invalid_op 0
		.amdhsa_exception_fp_denorm_src 0
		.amdhsa_exception_fp_ieee_div_zero 0
		.amdhsa_exception_fp_ieee_overflow 0
		.amdhsa_exception_fp_ieee_underflow 0
		.amdhsa_exception_fp_ieee_inexact 0
		.amdhsa_exception_int_div_zero 0
	.end_amdhsa_kernel
	.section	.text._ZN2at4cuda17kernelHistogram1DIfilLi1ELi2ELin1ELNS0_23CUDAHistogramMemoryTypeE0EZNS0_21CUDA_tensor_histogramIfiLb1EEEbNS_6TensorES4_S4_lNS_14AccumulateTypeIT0_Lb1EE4typeES8_NS0_13TensorArgTypeES9_S9_EUllE_EEvNS0_6detail10TensorInfoIT_T1_EESF_NSC_IKS6_SE_EElS8_S8_SE_T6_,"axG",@progbits,_ZN2at4cuda17kernelHistogram1DIfilLi1ELi2ELin1ELNS0_23CUDAHistogramMemoryTypeE0EZNS0_21CUDA_tensor_histogramIfiLb1EEEbNS_6TensorES4_S4_lNS_14AccumulateTypeIT0_Lb1EE4typeES8_NS0_13TensorArgTypeES9_S9_EUllE_EEvNS0_6detail10TensorInfoIT_T1_EESF_NSC_IKS6_SE_EElS8_S8_SE_T6_,comdat
.Lfunc_end24:
	.size	_ZN2at4cuda17kernelHistogram1DIfilLi1ELi2ELin1ELNS0_23CUDAHistogramMemoryTypeE0EZNS0_21CUDA_tensor_histogramIfiLb1EEEbNS_6TensorES4_S4_lNS_14AccumulateTypeIT0_Lb1EE4typeES8_NS0_13TensorArgTypeES9_S9_EUllE_EEvNS0_6detail10TensorInfoIT_T1_EESF_NSC_IKS6_SE_EElS8_S8_SE_T6_, .Lfunc_end24-_ZN2at4cuda17kernelHistogram1DIfilLi1ELi2ELin1ELNS0_23CUDAHistogramMemoryTypeE0EZNS0_21CUDA_tensor_histogramIfiLb1EEEbNS_6TensorES4_S4_lNS_14AccumulateTypeIT0_Lb1EE4typeES8_NS0_13TensorArgTypeES9_S9_EUllE_EEvNS0_6detail10TensorInfoIT_T1_EESF_NSC_IKS6_SE_EElS8_S8_SE_T6_
                                        ; -- End function
	.section	.AMDGPU.csdata,"",@progbits
; Kernel info:
; codeLenInByte = 3456
; NumSgprs: 53
; NumVgprs: 22
; NumAgprs: 0
; TotalNumVgprs: 22
; ScratchSize: 0
; MemoryBound: 0
; FloatMode: 240
; IeeeMode: 1
; LDSByteSize: 0 bytes/workgroup (compile time only)
; SGPRBlocks: 6
; VGPRBlocks: 2
; NumSGPRsForWavesPerEU: 53
; NumVGPRsForWavesPerEU: 22
; AccumOffset: 24
; Occupancy: 8
; WaveLimiterHint : 1
; COMPUTE_PGM_RSRC2:SCRATCH_EN: 0
; COMPUTE_PGM_RSRC2:USER_SGPR: 6
; COMPUTE_PGM_RSRC2:TRAP_HANDLER: 0
; COMPUTE_PGM_RSRC2:TGID_X_EN: 1
; COMPUTE_PGM_RSRC2:TGID_Y_EN: 0
; COMPUTE_PGM_RSRC2:TGID_Z_EN: 0
; COMPUTE_PGM_RSRC2:TIDIG_COMP_CNT: 0
; COMPUTE_PGM_RSRC3_GFX90A:ACCUM_OFFSET: 5
; COMPUTE_PGM_RSRC3_GFX90A:TG_SPLIT: 0
	.section	.text._ZN2at4cuda17kernelHistogram1DIfilLi1ELi2ELin1ELNS0_23CUDAHistogramMemoryTypeE1EZNS0_21CUDA_tensor_histogramIfiLb1EEEbNS_6TensorES4_S4_lNS_14AccumulateTypeIT0_Lb1EE4typeES8_NS0_13TensorArgTypeES9_S9_EUllE_EEvNS0_6detail10TensorInfoIT_T1_EESF_NSC_IKS6_SE_EElS8_S8_SE_T6_,"axG",@progbits,_ZN2at4cuda17kernelHistogram1DIfilLi1ELi2ELin1ELNS0_23CUDAHistogramMemoryTypeE1EZNS0_21CUDA_tensor_histogramIfiLb1EEEbNS_6TensorES4_S4_lNS_14AccumulateTypeIT0_Lb1EE4typeES8_NS0_13TensorArgTypeES9_S9_EUllE_EEvNS0_6detail10TensorInfoIT_T1_EESF_NSC_IKS6_SE_EElS8_S8_SE_T6_,comdat
	.protected	_ZN2at4cuda17kernelHistogram1DIfilLi1ELi2ELin1ELNS0_23CUDAHistogramMemoryTypeE1EZNS0_21CUDA_tensor_histogramIfiLb1EEEbNS_6TensorES4_S4_lNS_14AccumulateTypeIT0_Lb1EE4typeES8_NS0_13TensorArgTypeES9_S9_EUllE_EEvNS0_6detail10TensorInfoIT_T1_EESF_NSC_IKS6_SE_EElS8_S8_SE_T6_ ; -- Begin function _ZN2at4cuda17kernelHistogram1DIfilLi1ELi2ELin1ELNS0_23CUDAHistogramMemoryTypeE1EZNS0_21CUDA_tensor_histogramIfiLb1EEEbNS_6TensorES4_S4_lNS_14AccumulateTypeIT0_Lb1EE4typeES8_NS0_13TensorArgTypeES9_S9_EUllE_EEvNS0_6detail10TensorInfoIT_T1_EESF_NSC_IKS6_SE_EElS8_S8_SE_T6_
	.globl	_ZN2at4cuda17kernelHistogram1DIfilLi1ELi2ELin1ELNS0_23CUDAHistogramMemoryTypeE1EZNS0_21CUDA_tensor_histogramIfiLb1EEEbNS_6TensorES4_S4_lNS_14AccumulateTypeIT0_Lb1EE4typeES8_NS0_13TensorArgTypeES9_S9_EUllE_EEvNS0_6detail10TensorInfoIT_T1_EESF_NSC_IKS6_SE_EElS8_S8_SE_T6_
	.p2align	8
	.type	_ZN2at4cuda17kernelHistogram1DIfilLi1ELi2ELin1ELNS0_23CUDAHistogramMemoryTypeE1EZNS0_21CUDA_tensor_histogramIfiLb1EEEbNS_6TensorES4_S4_lNS_14AccumulateTypeIT0_Lb1EE4typeES8_NS0_13TensorArgTypeES9_S9_EUllE_EEvNS0_6detail10TensorInfoIT_T1_EESF_NSC_IKS6_SE_EElS8_S8_SE_T6_,@function
_ZN2at4cuda17kernelHistogram1DIfilLi1ELi2ELin1ELNS0_23CUDAHistogramMemoryTypeE1EZNS0_21CUDA_tensor_histogramIfiLb1EEEbNS_6TensorES4_S4_lNS_14AccumulateTypeIT0_Lb1EE4typeES8_NS0_13TensorArgTypeES9_S9_EUllE_EEvNS0_6detail10TensorInfoIT_T1_EESF_NSC_IKS6_SE_EElS8_S8_SE_T6_: ; @_ZN2at4cuda17kernelHistogram1DIfilLi1ELi2ELin1ELNS0_23CUDAHistogramMemoryTypeE1EZNS0_21CUDA_tensor_histogramIfiLb1EEEbNS_6TensorES4_S4_lNS_14AccumulateTypeIT0_Lb1EE4typeES8_NS0_13TensorArgTypeES9_S9_EUllE_EEvNS0_6detail10TensorInfoIT_T1_EESF_NSC_IKS6_SE_EElS8_S8_SE_T6_
; %bb.0:
	s_load_dword s2, s[4:5], 0x6ac
	s_load_dwordx8 s[8:15], s[4:5], 0x4e0
	s_add_u32 s0, s4, 0x6a0
	s_addc_u32 s1, s5, 0
	v_mov_b32_e32 v2, 0
	s_waitcnt lgkmcnt(0)
	s_and_b32 s2, s2, 0xffff
	s_mul_i32 s6, s6, s2
	v_add_u32_e32 v0, s6, v0
	v_mov_b32_e32 v1, v2
	v_cmp_gt_i64_e32 vcc, s[14:15], v[0:1]
	s_and_saveexec_b64 s[6:7], vcc
	s_cbranch_execz .LBB25_16
; %bb.1:
	s_load_dwordx2 s[6:7], s[4:5], 0x5d0
	s_load_dwordx2 s[16:17], s[4:5], 0x500
	s_load_dword s3, s[4:5], 0x4d8
	s_load_dwordx2 s[18:19], s[4:5], 0x0
	s_load_dwordx2 s[20:21], s[4:5], 0xd0
	s_load_dword s28, s[0:1], 0x0
	s_add_u32 s26, s4, 0x340
	s_addc_u32 s27, s5, 0
	s_mov_b32 s42, 0
	s_waitcnt lgkmcnt(0)
	s_cmp_gt_i32 s3, 1
	s_cselect_b64 s[0:1], -1, 0
	s_sub_u32 s33, s12, s10
	s_subb_u32 s40, s13, s11
	s_mul_i32 s41, s28, s2
	s_add_i32 s43, s3, 1
	s_add_i32 s2, s3, -1
	s_mov_b32 s3, s42
	s_load_dwordx2 s[22:23], s[4:5], 0x410
	s_load_dwordx2 s[24:25], s[4:5], 0x340
	s_lshl_b64 s[2:3], s[2:3], 3
	s_add_u32 s2, s2, s26
	s_addc_u32 s3, s3, s27
	s_add_u32 s4, s2, 8
	v_cndmask_b32_e64 v3, 0, 1, s[0:1]
	s_addc_u32 s5, s3, 0
	s_mov_b64 s[26:27], 0
	v_cmp_ne_u32_e64 s[0:1], 1, v3
	s_branch .LBB25_4
.LBB25_2:                               ;   in Loop: Header=BB25_4 Depth=1
	s_or_b64 exec, exec, s[2:3]
	v_mul_lo_u32 v3, v1, s6
	v_mul_lo_u32 v7, v0, s7
	v_mad_u64_u32 v[4:5], s[2:3], v0, s6, 0
	v_add3_u32 v5, v5, v7, v3
	v_lshlrev_b64 v[4:5], 2, v[4:5]
	v_mov_b32_e32 v3, s17
	v_add_co_u32_e32 v4, vcc, s16, v4
	v_addc_co_u32_e32 v5, vcc, v3, v5, vcc
	global_load_dword v3, v[4:5], off
	v_ashrrev_i32_e32 v7, 31, v6
	v_cmp_eq_u64_e32 vcc, s[8:9], v[6:7]
	v_cndmask_b32_e64 v4, 0, 1, vcc
	v_sub_co_u32_e32 v4, vcc, v6, v4
	v_subbrev_co_u32_e32 v5, vcc, 0, v7, vcc
	v_mul_lo_u32 v6, v5, s20
	v_mul_lo_u32 v7, v4, s21
	v_mad_u64_u32 v[4:5], s[2:3], v4, s20, 0
	v_add3_u32 v5, v5, v7, v6
	v_lshlrev_b64 v[4:5], 2, v[4:5]
	v_mov_b32_e32 v6, s19
	v_add_co_u32_e32 v4, vcc, s18, v4
	v_addc_co_u32_e32 v5, vcc, v6, v5, vcc
	s_waitcnt vmcnt(0)
	global_atomic_add_f32 v[4:5], v3, off
.LBB25_3:                               ;   in Loop: Header=BB25_4 Depth=1
	s_or_b64 exec, exec, s[28:29]
	v_mov_b32_e32 v3, s42
	v_add_co_u32_e32 v0, vcc, s41, v0
	v_addc_co_u32_e32 v1, vcc, v1, v3, vcc
	v_cmp_le_i64_e32 vcc, s[14:15], v[0:1]
	s_or_b64 s[26:27], vcc, s[26:27]
	s_andn2_b64 exec, exec, s[26:27]
	s_cbranch_execz .LBB25_16
.LBB25_4:                               ; =>This Loop Header: Depth=1
                                        ;     Child Loop BB25_5 Depth 2
	s_and_b64 vcc, exec, s[0:1]
	v_pk_mov_b32 v[4:5], 0, 0
	s_mov_b64 s[28:29], s[4:5]
	s_mov_b32 s44, s43
	v_pk_mov_b32 v[6:7], v[0:1], v[0:1] op_sel:[0,1]
	v_pk_mov_b32 v[8:9], v[0:1], v[0:1] op_sel:[0,1]
	s_cbranch_vccnz .LBB25_11
.LBB25_5:                               ;   Parent Loop BB25_4 Depth=1
                                        ; =>  This Inner Loop Header: Depth=2
	s_load_dwordx2 s[30:31], s[28:29], 0x0
                                        ; implicit-def: $vgpr8_vgpr9
	s_waitcnt lgkmcnt(0)
	v_or_b32_e32 v3, s31, v7
	v_cmp_ne_u64_e32 vcc, 0, v[2:3]
	s_and_saveexec_b64 s[2:3], vcc
	s_xor_b64 s[34:35], exec, s[2:3]
	s_cbranch_execz .LBB25_7
; %bb.6:                                ;   in Loop: Header=BB25_5 Depth=2
	s_ashr_i32 s36, s31, 31
	s_add_u32 s2, s30, s36
	s_mov_b32 s37, s36
	s_addc_u32 s3, s31, s36
	s_xor_b64 s[38:39], s[2:3], s[36:37]
	v_cvt_f32_u32_e32 v3, s38
	v_cvt_f32_u32_e32 v8, s39
	s_sub_u32 s2, 0, s38
	s_subb_u32 s3, 0, s39
	v_mac_f32_e32 v3, 0x4f800000, v8
	v_rcp_f32_e32 v3, v3
	v_mul_f32_e32 v3, 0x5f7ffffc, v3
	v_mul_f32_e32 v8, 0x2f800000, v3
	v_trunc_f32_e32 v8, v8
	v_mac_f32_e32 v3, 0xcf800000, v8
	v_cvt_u32_f32_e32 v8, v8
	v_cvt_u32_f32_e32 v3, v3
	v_mul_lo_u32 v9, s2, v8
	v_mul_hi_u32 v11, s2, v3
	v_mul_lo_u32 v10, s3, v3
	v_add_u32_e32 v9, v11, v9
	v_mul_lo_u32 v12, s2, v3
	v_add_u32_e32 v9, v9, v10
	v_mul_lo_u32 v11, v3, v9
	v_mul_hi_u32 v13, v3, v12
	v_mul_hi_u32 v10, v3, v9
	v_add_co_u32_e32 v11, vcc, v13, v11
	v_addc_co_u32_e32 v10, vcc, 0, v10, vcc
	v_mul_hi_u32 v14, v8, v12
	v_mul_lo_u32 v12, v8, v12
	v_add_co_u32_e32 v11, vcc, v11, v12
	v_mul_hi_u32 v13, v8, v9
	v_addc_co_u32_e32 v10, vcc, v10, v14, vcc
	v_addc_co_u32_e32 v11, vcc, 0, v13, vcc
	v_mul_lo_u32 v9, v8, v9
	v_add_co_u32_e32 v9, vcc, v10, v9
	v_addc_co_u32_e32 v10, vcc, 0, v11, vcc
	v_add_co_u32_e32 v3, vcc, v3, v9
	v_addc_co_u32_e32 v8, vcc, v8, v10, vcc
	v_mul_lo_u32 v9, s2, v8
	v_mul_hi_u32 v10, s2, v3
	v_add_u32_e32 v9, v10, v9
	v_mul_lo_u32 v10, s3, v3
	v_add_u32_e32 v9, v9, v10
	v_mul_lo_u32 v11, s2, v3
	v_mul_hi_u32 v12, v8, v11
	v_mul_lo_u32 v13, v8, v11
	v_mul_lo_u32 v15, v3, v9
	v_mul_hi_u32 v11, v3, v11
	v_mul_hi_u32 v14, v3, v9
	v_add_co_u32_e32 v11, vcc, v11, v15
	v_addc_co_u32_e32 v14, vcc, 0, v14, vcc
	v_add_co_u32_e32 v11, vcc, v11, v13
	v_mul_hi_u32 v10, v8, v9
	v_addc_co_u32_e32 v11, vcc, v14, v12, vcc
	v_addc_co_u32_e32 v10, vcc, 0, v10, vcc
	v_mul_lo_u32 v9, v8, v9
	v_add_co_u32_e32 v9, vcc, v11, v9
	v_addc_co_u32_e32 v10, vcc, 0, v10, vcc
	v_add_co_u32_e32 v3, vcc, v3, v9
	v_addc_co_u32_e32 v10, vcc, v8, v10, vcc
	v_ashrrev_i32_e32 v12, 31, v7
	v_add_co_u32_e32 v8, vcc, v6, v12
	v_addc_co_u32_e32 v9, vcc, v7, v12, vcc
	v_xor_b32_e32 v14, v8, v12
	v_xor_b32_e32 v13, v9, v12
	v_mad_u64_u32 v[8:9], s[2:3], v14, v10, 0
	v_mul_hi_u32 v11, v14, v3
	v_add_co_u32_e32 v15, vcc, v11, v8
	v_addc_co_u32_e32 v16, vcc, 0, v9, vcc
	v_mad_u64_u32 v[8:9], s[2:3], v13, v10, 0
	v_mad_u64_u32 v[10:11], s[2:3], v13, v3, 0
	v_add_co_u32_e32 v3, vcc, v15, v10
	v_addc_co_u32_e32 v3, vcc, v16, v11, vcc
	v_addc_co_u32_e32 v9, vcc, 0, v9, vcc
	v_add_co_u32_e32 v3, vcc, v3, v8
	v_addc_co_u32_e32 v10, vcc, 0, v9, vcc
	v_mul_lo_u32 v11, s39, v3
	v_mul_lo_u32 v15, s38, v10
	v_mad_u64_u32 v[8:9], s[2:3], s38, v3, 0
	v_add3_u32 v9, v9, v15, v11
	v_sub_u32_e32 v11, v13, v9
	v_mov_b32_e32 v15, s39
	v_sub_co_u32_e32 v8, vcc, v14, v8
	v_subb_co_u32_e64 v11, s[2:3], v11, v15, vcc
	v_subrev_co_u32_e64 v14, s[2:3], s38, v8
	v_subbrev_co_u32_e64 v11, s[2:3], 0, v11, s[2:3]
	v_cmp_le_u32_e64 s[2:3], s39, v11
	v_cndmask_b32_e64 v15, 0, -1, s[2:3]
	v_cmp_le_u32_e64 s[2:3], s38, v14
	v_cndmask_b32_e64 v14, 0, -1, s[2:3]
	v_cmp_eq_u32_e64 s[2:3], s39, v11
	v_cndmask_b32_e64 v11, v15, v14, s[2:3]
	v_add_co_u32_e64 v14, s[2:3], 2, v3
	v_subb_co_u32_e32 v9, vcc, v13, v9, vcc
	v_addc_co_u32_e64 v15, s[2:3], 0, v10, s[2:3]
	v_cmp_le_u32_e32 vcc, s39, v9
	v_add_co_u32_e64 v16, s[2:3], 1, v3
	v_cndmask_b32_e64 v13, 0, -1, vcc
	v_cmp_le_u32_e32 vcc, s38, v8
	v_addc_co_u32_e64 v17, s[2:3], 0, v10, s[2:3]
	v_cndmask_b32_e64 v8, 0, -1, vcc
	v_cmp_eq_u32_e32 vcc, s39, v9
	v_cmp_ne_u32_e64 s[2:3], 0, v11
	v_cndmask_b32_e32 v8, v13, v8, vcc
	v_cmp_ne_u32_e32 vcc, 0, v8
	v_cndmask_b32_e64 v9, v16, v14, s[2:3]
	v_cndmask_b32_e64 v11, v17, v15, s[2:3]
	v_cndmask_b32_e32 v3, v3, v9, vcc
	v_xor_b32_e32 v9, s36, v12
	v_cndmask_b32_e32 v8, v10, v11, vcc
	v_xor_b32_e32 v3, v3, v9
	v_xor_b32_e32 v10, v8, v9
	v_sub_co_u32_e32 v8, vcc, v3, v9
	v_subb_co_u32_e32 v9, vcc, v10, v9, vcc
.LBB25_7:                               ;   in Loop: Header=BB25_5 Depth=2
	s_andn2_saveexec_b64 s[2:3], s[34:35]
	s_cbranch_execz .LBB25_9
; %bb.8:                                ;   in Loop: Header=BB25_5 Depth=2
	v_cvt_f32_u32_e32 v3, s30
	s_sub_i32 s34, 0, s30
	v_rcp_iflag_f32_e32 v3, v3
	v_mul_f32_e32 v3, 0x4f7ffffe, v3
	v_cvt_u32_f32_e32 v3, v3
	v_mul_lo_u32 v8, s34, v3
	v_mul_hi_u32 v8, v3, v8
	v_add_u32_e32 v3, v3, v8
	v_mul_hi_u32 v3, v6, v3
	v_mul_lo_u32 v8, v3, s30
	v_sub_u32_e32 v8, v6, v8
	v_add_u32_e32 v9, 1, v3
	v_subrev_u32_e32 v10, s30, v8
	v_cmp_le_u32_e32 vcc, s30, v8
	v_cndmask_b32_e32 v8, v8, v10, vcc
	v_cndmask_b32_e32 v3, v3, v9, vcc
	v_add_u32_e32 v9, 1, v3
	v_cmp_le_u32_e32 vcc, s30, v8
	v_cndmask_b32_e32 v8, v3, v9, vcc
	v_mov_b32_e32 v9, v2
.LBB25_9:                               ;   in Loop: Header=BB25_5 Depth=2
	s_or_b64 exec, exec, s[2:3]
	v_mad_u64_u32 v[10:11], s[2:3], v8, s30, 0
	s_load_dwordx2 s[2:3], s[28:29], 0xc8
	v_mul_lo_u32 v3, v9, s30
	v_mul_lo_u32 v12, v8, s31
	v_add3_u32 v3, v11, v12, v3
	v_sub_co_u32_e32 v6, vcc, v6, v10
	s_add_i32 s44, s44, -1
	v_subb_co_u32_e32 v3, vcc, v7, v3, vcc
	s_add_u32 s28, s28, -8
	s_waitcnt lgkmcnt(0)
	v_mul_lo_u32 v3, s2, v3
	v_mul_lo_u32 v7, s3, v6
	v_mad_u64_u32 v[4:5], s[2:3], s2, v6, v[4:5]
	s_addc_u32 s29, s29, -1
	s_cmp_gt_u32 s44, 2
	v_add3_u32 v5, v7, v5, v3
	s_cbranch_scc0 .LBB25_11
; %bb.10:                               ;   in Loop: Header=BB25_5 Depth=2
	v_pk_mov_b32 v[6:7], v[8:9], v[8:9] op_sel:[0,1]
	s_branch .LBB25_5
.LBB25_11:                              ;   in Loop: Header=BB25_4 Depth=1
	s_waitcnt lgkmcnt(0)
	v_mul_lo_u32 v3, s23, v8
	v_mul_lo_u32 v9, s22, v9
	v_mad_u64_u32 v[6:7], s[2:3], s22, v8, 0
	v_add3_u32 v7, v7, v9, v3
	v_lshlrev_b64 v[6:7], 2, v[6:7]
	v_mov_b32_e32 v3, s25
	v_add_co_u32_e32 v6, vcc, s24, v6
	v_addc_co_u32_e32 v3, vcc, v3, v7, vcc
	v_lshlrev_b64 v[4:5], 2, v[4:5]
	v_add_co_u32_e32 v4, vcc, v6, v4
	v_addc_co_u32_e32 v5, vcc, v3, v5, vcc
	global_load_dword v4, v[4:5], off
	s_waitcnt vmcnt(0)
	v_ashrrev_i32_e32 v5, 31, v4
	v_cmp_le_i64_e32 vcc, s[10:11], v[4:5]
	v_cmp_ge_i64_e64 s[2:3], s[12:13], v[4:5]
	s_and_b64 s[2:3], vcc, s[2:3]
	s_and_saveexec_b64 s[28:29], s[2:3]
	s_cbranch_execz .LBB25_3
; %bb.12:                               ;   in Loop: Header=BB25_4 Depth=1
	v_mov_b32_e32 v3, s11
	v_subrev_co_u32_e32 v4, vcc, s10, v4
	v_subb_co_u32_e32 v3, vcc, v5, v3, vcc
	v_mul_lo_u32 v3, v3, s8
	v_mul_lo_u32 v6, v4, s9
	v_mad_u64_u32 v[4:5], s[2:3], v4, s8, 0
	v_add3_u32 v5, v5, v6, v3
	v_or_b32_e32 v3, s40, v5
	v_cmp_ne_u64_e32 vcc, 0, v[2:3]
                                        ; implicit-def: $vgpr6_vgpr7
	s_and_saveexec_b64 s[2:3], vcc
	s_xor_b64 s[30:31], exec, s[2:3]
	s_cbranch_execz .LBB25_14
; %bb.13:                               ;   in Loop: Header=BB25_4 Depth=1
	s_ashr_i32 s34, s40, 31
	s_add_u32 s2, s33, s34
	s_mov_b32 s35, s34
	s_addc_u32 s3, s40, s34
	s_xor_b64 s[36:37], s[2:3], s[34:35]
	v_cvt_f32_u32_e32 v3, s36
	v_cvt_f32_u32_e32 v6, s37
	s_sub_u32 s2, 0, s36
	s_subb_u32 s3, 0, s37
	v_mac_f32_e32 v3, 0x4f800000, v6
	v_rcp_f32_e32 v3, v3
	v_mul_f32_e32 v3, 0x5f7ffffc, v3
	v_mul_f32_e32 v6, 0x2f800000, v3
	v_trunc_f32_e32 v6, v6
	v_mac_f32_e32 v3, 0xcf800000, v6
	v_cvt_u32_f32_e32 v6, v6
	v_cvt_u32_f32_e32 v3, v3
	v_mul_lo_u32 v7, s2, v6
	v_mul_hi_u32 v9, s2, v3
	v_mul_lo_u32 v8, s3, v3
	v_add_u32_e32 v7, v9, v7
	v_mul_lo_u32 v10, s2, v3
	v_add_u32_e32 v7, v7, v8
	v_mul_lo_u32 v9, v3, v7
	v_mul_hi_u32 v11, v3, v10
	v_mul_hi_u32 v8, v3, v7
	v_add_co_u32_e32 v9, vcc, v11, v9
	v_addc_co_u32_e32 v8, vcc, 0, v8, vcc
	v_mul_hi_u32 v12, v6, v10
	v_mul_lo_u32 v10, v6, v10
	v_add_co_u32_e32 v9, vcc, v9, v10
	v_mul_hi_u32 v11, v6, v7
	v_addc_co_u32_e32 v8, vcc, v8, v12, vcc
	v_addc_co_u32_e32 v9, vcc, 0, v11, vcc
	v_mul_lo_u32 v7, v6, v7
	v_add_co_u32_e32 v7, vcc, v8, v7
	v_addc_co_u32_e32 v8, vcc, 0, v9, vcc
	v_add_co_u32_e32 v3, vcc, v3, v7
	v_addc_co_u32_e32 v6, vcc, v6, v8, vcc
	v_mul_lo_u32 v7, s2, v6
	v_mul_hi_u32 v8, s2, v3
	v_add_u32_e32 v7, v8, v7
	v_mul_lo_u32 v8, s3, v3
	v_add_u32_e32 v7, v7, v8
	v_mul_lo_u32 v9, s2, v3
	v_mul_hi_u32 v10, v6, v9
	v_mul_lo_u32 v11, v6, v9
	v_mul_lo_u32 v13, v3, v7
	v_mul_hi_u32 v9, v3, v9
	v_mul_hi_u32 v12, v3, v7
	v_add_co_u32_e32 v9, vcc, v9, v13
	v_addc_co_u32_e32 v12, vcc, 0, v12, vcc
	v_add_co_u32_e32 v9, vcc, v9, v11
	v_mul_hi_u32 v8, v6, v7
	v_addc_co_u32_e32 v9, vcc, v12, v10, vcc
	v_addc_co_u32_e32 v8, vcc, 0, v8, vcc
	v_mul_lo_u32 v7, v6, v7
	v_add_co_u32_e32 v7, vcc, v9, v7
	v_addc_co_u32_e32 v8, vcc, 0, v8, vcc
	v_add_co_u32_e32 v3, vcc, v3, v7
	v_addc_co_u32_e32 v6, vcc, v6, v8, vcc
	v_ashrrev_i32_e32 v8, 31, v5
	v_add_co_u32_e32 v4, vcc, v4, v8
	v_addc_co_u32_e32 v5, vcc, v5, v8, vcc
	v_xor_b32_e32 v10, v4, v8
	v_xor_b32_e32 v9, v5, v8
	v_mad_u64_u32 v[4:5], s[2:3], v10, v6, 0
	v_mul_hi_u32 v7, v10, v3
	v_add_co_u32_e32 v11, vcc, v7, v4
	v_addc_co_u32_e32 v12, vcc, 0, v5, vcc
	v_mad_u64_u32 v[4:5], s[2:3], v9, v6, 0
	v_mad_u64_u32 v[6:7], s[2:3], v9, v3, 0
	v_add_co_u32_e32 v3, vcc, v11, v6
	v_addc_co_u32_e32 v3, vcc, v12, v7, vcc
	v_addc_co_u32_e32 v5, vcc, 0, v5, vcc
	v_add_co_u32_e32 v3, vcc, v3, v4
	v_addc_co_u32_e32 v4, vcc, 0, v5, vcc
	v_mul_lo_u32 v6, s37, v3
	v_mul_lo_u32 v7, s36, v4
	v_mad_u64_u32 v[4:5], s[2:3], s36, v3, 0
	v_add3_u32 v5, v5, v7, v6
	v_sub_u32_e32 v6, v9, v5
	v_mov_b32_e32 v7, s37
	v_sub_co_u32_e32 v4, vcc, v10, v4
	v_subb_co_u32_e64 v6, s[2:3], v6, v7, vcc
	v_subrev_co_u32_e64 v7, s[2:3], s36, v4
	v_subbrev_co_u32_e64 v6, s[2:3], 0, v6, s[2:3]
	v_cmp_le_u32_e64 s[2:3], s37, v6
	v_subb_co_u32_e32 v5, vcc, v9, v5, vcc
	v_cndmask_b32_e64 v10, 0, -1, s[2:3]
	v_cmp_le_u32_e64 s[2:3], s36, v7
	v_cmp_le_u32_e32 vcc, s37, v5
	v_cndmask_b32_e64 v7, 0, -1, s[2:3]
	v_cmp_eq_u32_e64 s[2:3], s37, v6
	v_cndmask_b32_e64 v9, 0, -1, vcc
	v_cmp_le_u32_e32 vcc, s36, v4
	v_cndmask_b32_e64 v6, v10, v7, s[2:3]
	v_cndmask_b32_e64 v4, 0, -1, vcc
	v_cmp_eq_u32_e32 vcc, s37, v5
	v_add_co_u32_e64 v7, s[2:3], 2, v3
	v_add_co_u32_e64 v10, s[2:3], 1, v3
	v_cndmask_b32_e32 v4, v9, v4, vcc
	v_cmp_ne_u32_e32 vcc, 0, v6
	v_cndmask_b32_e32 v5, v10, v7, vcc
	v_cmp_ne_u32_e32 vcc, 0, v4
	v_cndmask_b32_e32 v3, v3, v5, vcc
	v_xor_b32_e32 v4, s34, v8
	v_xor_b32_e32 v3, v3, v4
	v_sub_co_u32_e32 v6, vcc, v3, v4
                                        ; implicit-def: $vgpr4_vgpr5
.LBB25_14:                              ;   in Loop: Header=BB25_4 Depth=1
	s_andn2_saveexec_b64 s[2:3], s[30:31]
	s_cbranch_execz .LBB25_2
; %bb.15:                               ;   in Loop: Header=BB25_4 Depth=1
	v_cvt_f32_u32_e32 v3, s33
	s_sub_i32 s30, 0, s33
	v_rcp_iflag_f32_e32 v3, v3
	v_mul_f32_e32 v3, 0x4f7ffffe, v3
	v_cvt_u32_f32_e32 v3, v3
	v_mul_lo_u32 v5, s30, v3
	v_mul_hi_u32 v5, v3, v5
	v_add_u32_e32 v3, v3, v5
	v_mul_hi_u32 v3, v4, v3
	v_mul_lo_u32 v5, v3, s33
	v_sub_u32_e32 v4, v4, v5
	v_add_u32_e32 v6, 1, v3
	v_subrev_u32_e32 v5, s33, v4
	v_cmp_le_u32_e32 vcc, s33, v4
	v_cndmask_b32_e32 v4, v4, v5, vcc
	v_cndmask_b32_e32 v3, v3, v6, vcc
	v_add_u32_e32 v5, 1, v3
	v_cmp_le_u32_e32 vcc, s33, v4
	v_cndmask_b32_e32 v6, v3, v5, vcc
	s_branch .LBB25_2
.LBB25_16:
	s_endpgm
	.section	.rodata,"a",@progbits
	.p2align	6, 0x0
	.amdhsa_kernel _ZN2at4cuda17kernelHistogram1DIfilLi1ELi2ELin1ELNS0_23CUDAHistogramMemoryTypeE1EZNS0_21CUDA_tensor_histogramIfiLb1EEEbNS_6TensorES4_S4_lNS_14AccumulateTypeIT0_Lb1EE4typeES8_NS0_13TensorArgTypeES9_S9_EUllE_EEvNS0_6detail10TensorInfoIT_T1_EESF_NSC_IKS6_SE_EElS8_S8_SE_T6_
		.amdhsa_group_segment_fixed_size 0
		.amdhsa_private_segment_fixed_size 0
		.amdhsa_kernarg_size 1952
		.amdhsa_user_sgpr_count 6
		.amdhsa_user_sgpr_private_segment_buffer 1
		.amdhsa_user_sgpr_dispatch_ptr 0
		.amdhsa_user_sgpr_queue_ptr 0
		.amdhsa_user_sgpr_kernarg_segment_ptr 1
		.amdhsa_user_sgpr_dispatch_id 0
		.amdhsa_user_sgpr_flat_scratch_init 0
		.amdhsa_user_sgpr_kernarg_preload_length 0
		.amdhsa_user_sgpr_kernarg_preload_offset 0
		.amdhsa_user_sgpr_private_segment_size 0
		.amdhsa_uses_dynamic_stack 0
		.amdhsa_system_sgpr_private_segment_wavefront_offset 0
		.amdhsa_system_sgpr_workgroup_id_x 1
		.amdhsa_system_sgpr_workgroup_id_y 0
		.amdhsa_system_sgpr_workgroup_id_z 0
		.amdhsa_system_sgpr_workgroup_info 0
		.amdhsa_system_vgpr_workitem_id 0
		.amdhsa_next_free_vgpr 18
		.amdhsa_next_free_sgpr 45
		.amdhsa_accum_offset 20
		.amdhsa_reserve_vcc 1
		.amdhsa_reserve_flat_scratch 0
		.amdhsa_float_round_mode_32 0
		.amdhsa_float_round_mode_16_64 0
		.amdhsa_float_denorm_mode_32 3
		.amdhsa_float_denorm_mode_16_64 3
		.amdhsa_dx10_clamp 1
		.amdhsa_ieee_mode 1
		.amdhsa_fp16_overflow 0
		.amdhsa_tg_split 0
		.amdhsa_exception_fp_ieee_invalid_op 0
		.amdhsa_exception_fp_denorm_src 0
		.amdhsa_exception_fp_ieee_div_zero 0
		.amdhsa_exception_fp_ieee_overflow 0
		.amdhsa_exception_fp_ieee_underflow 0
		.amdhsa_exception_fp_ieee_inexact 0
		.amdhsa_exception_int_div_zero 0
	.end_amdhsa_kernel
	.section	.text._ZN2at4cuda17kernelHistogram1DIfilLi1ELi2ELin1ELNS0_23CUDAHistogramMemoryTypeE1EZNS0_21CUDA_tensor_histogramIfiLb1EEEbNS_6TensorES4_S4_lNS_14AccumulateTypeIT0_Lb1EE4typeES8_NS0_13TensorArgTypeES9_S9_EUllE_EEvNS0_6detail10TensorInfoIT_T1_EESF_NSC_IKS6_SE_EElS8_S8_SE_T6_,"axG",@progbits,_ZN2at4cuda17kernelHistogram1DIfilLi1ELi2ELin1ELNS0_23CUDAHistogramMemoryTypeE1EZNS0_21CUDA_tensor_histogramIfiLb1EEEbNS_6TensorES4_S4_lNS_14AccumulateTypeIT0_Lb1EE4typeES8_NS0_13TensorArgTypeES9_S9_EUllE_EEvNS0_6detail10TensorInfoIT_T1_EESF_NSC_IKS6_SE_EElS8_S8_SE_T6_,comdat
.Lfunc_end25:
	.size	_ZN2at4cuda17kernelHistogram1DIfilLi1ELi2ELin1ELNS0_23CUDAHistogramMemoryTypeE1EZNS0_21CUDA_tensor_histogramIfiLb1EEEbNS_6TensorES4_S4_lNS_14AccumulateTypeIT0_Lb1EE4typeES8_NS0_13TensorArgTypeES9_S9_EUllE_EEvNS0_6detail10TensorInfoIT_T1_EESF_NSC_IKS6_SE_EElS8_S8_SE_T6_, .Lfunc_end25-_ZN2at4cuda17kernelHistogram1DIfilLi1ELi2ELin1ELNS0_23CUDAHistogramMemoryTypeE1EZNS0_21CUDA_tensor_histogramIfiLb1EEEbNS_6TensorES4_S4_lNS_14AccumulateTypeIT0_Lb1EE4typeES8_NS0_13TensorArgTypeES9_S9_EUllE_EEvNS0_6detail10TensorInfoIT_T1_EESF_NSC_IKS6_SE_EElS8_S8_SE_T6_
                                        ; -- End function
	.section	.AMDGPU.csdata,"",@progbits
; Kernel info:
; codeLenInByte = 2292
; NumSgprs: 49
; NumVgprs: 18
; NumAgprs: 0
; TotalNumVgprs: 18
; ScratchSize: 0
; MemoryBound: 0
; FloatMode: 240
; IeeeMode: 1
; LDSByteSize: 0 bytes/workgroup (compile time only)
; SGPRBlocks: 6
; VGPRBlocks: 2
; NumSGPRsForWavesPerEU: 49
; NumVGPRsForWavesPerEU: 18
; AccumOffset: 20
; Occupancy: 8
; WaveLimiterHint : 1
; COMPUTE_PGM_RSRC2:SCRATCH_EN: 0
; COMPUTE_PGM_RSRC2:USER_SGPR: 6
; COMPUTE_PGM_RSRC2:TRAP_HANDLER: 0
; COMPUTE_PGM_RSRC2:TGID_X_EN: 1
; COMPUTE_PGM_RSRC2:TGID_Y_EN: 0
; COMPUTE_PGM_RSRC2:TGID_Z_EN: 0
; COMPUTE_PGM_RSRC2:TIDIG_COMP_CNT: 0
; COMPUTE_PGM_RSRC3_GFX90A:ACCUM_OFFSET: 4
; COMPUTE_PGM_RSRC3_GFX90A:TG_SPLIT: 0
	.section	.text._ZN2at4cuda17kernelHistogram1DIfilLi1ELi2ELin1ELNS0_23CUDAHistogramMemoryTypeE0EZNS0_21CUDA_tensor_histogramIfiLb1EEEbNS_6TensorES4_S4_lNS_14AccumulateTypeIT0_Lb1EE4typeES8_NS0_13TensorArgTypeES9_S9_EUllE0_EEvNS0_6detail10TensorInfoIT_T1_EESF_NSC_IKS6_SE_EElS8_S8_SE_T6_,"axG",@progbits,_ZN2at4cuda17kernelHistogram1DIfilLi1ELi2ELin1ELNS0_23CUDAHistogramMemoryTypeE0EZNS0_21CUDA_tensor_histogramIfiLb1EEEbNS_6TensorES4_S4_lNS_14AccumulateTypeIT0_Lb1EE4typeES8_NS0_13TensorArgTypeES9_S9_EUllE0_EEvNS0_6detail10TensorInfoIT_T1_EESF_NSC_IKS6_SE_EElS8_S8_SE_T6_,comdat
	.protected	_ZN2at4cuda17kernelHistogram1DIfilLi1ELi2ELin1ELNS0_23CUDAHistogramMemoryTypeE0EZNS0_21CUDA_tensor_histogramIfiLb1EEEbNS_6TensorES4_S4_lNS_14AccumulateTypeIT0_Lb1EE4typeES8_NS0_13TensorArgTypeES9_S9_EUllE0_EEvNS0_6detail10TensorInfoIT_T1_EESF_NSC_IKS6_SE_EElS8_S8_SE_T6_ ; -- Begin function _ZN2at4cuda17kernelHistogram1DIfilLi1ELi2ELin1ELNS0_23CUDAHistogramMemoryTypeE0EZNS0_21CUDA_tensor_histogramIfiLb1EEEbNS_6TensorES4_S4_lNS_14AccumulateTypeIT0_Lb1EE4typeES8_NS0_13TensorArgTypeES9_S9_EUllE0_EEvNS0_6detail10TensorInfoIT_T1_EESF_NSC_IKS6_SE_EElS8_S8_SE_T6_
	.globl	_ZN2at4cuda17kernelHistogram1DIfilLi1ELi2ELin1ELNS0_23CUDAHistogramMemoryTypeE0EZNS0_21CUDA_tensor_histogramIfiLb1EEEbNS_6TensorES4_S4_lNS_14AccumulateTypeIT0_Lb1EE4typeES8_NS0_13TensorArgTypeES9_S9_EUllE0_EEvNS0_6detail10TensorInfoIT_T1_EESF_NSC_IKS6_SE_EElS8_S8_SE_T6_
	.p2align	8
	.type	_ZN2at4cuda17kernelHistogram1DIfilLi1ELi2ELin1ELNS0_23CUDAHistogramMemoryTypeE0EZNS0_21CUDA_tensor_histogramIfiLb1EEEbNS_6TensorES4_S4_lNS_14AccumulateTypeIT0_Lb1EE4typeES8_NS0_13TensorArgTypeES9_S9_EUllE0_EEvNS0_6detail10TensorInfoIT_T1_EESF_NSC_IKS6_SE_EElS8_S8_SE_T6_,@function
_ZN2at4cuda17kernelHistogram1DIfilLi1ELi2ELin1ELNS0_23CUDAHistogramMemoryTypeE0EZNS0_21CUDA_tensor_histogramIfiLb1EEEbNS_6TensorES4_S4_lNS_14AccumulateTypeIT0_Lb1EE4typeES8_NS0_13TensorArgTypeES9_S9_EUllE0_EEvNS0_6detail10TensorInfoIT_T1_EESF_NSC_IKS6_SE_EElS8_S8_SE_T6_: ; @_ZN2at4cuda17kernelHistogram1DIfilLi1ELi2ELin1ELNS0_23CUDAHistogramMemoryTypeE0EZNS0_21CUDA_tensor_histogramIfiLb1EEEbNS_6TensorES4_S4_lNS_14AccumulateTypeIT0_Lb1EE4typeES8_NS0_13TensorArgTypeES9_S9_EUllE0_EEvNS0_6detail10TensorInfoIT_T1_EESF_NSC_IKS6_SE_EElS8_S8_SE_T6_
; %bb.0:
	s_load_dwordx4 s[16:19], s[4:5], 0x0
	v_mov_b32_e32 v1, 0
	s_add_u32 s22, s4, 0x508
	s_addc_u32 s23, s5, 0
                                        ; implicit-def: $sgpr7
	s_waitcnt lgkmcnt(0)
	v_cmp_gt_i64_e64 s[0:1], s[18:19], v[0:1]
	v_cmp_le_i64_e32 vcc, s[18:19], v[0:1]
	s_and_saveexec_b64 s[2:3], vcc
	s_xor_b64 s[2:3], exec, s[2:3]
	s_cbranch_execz .LBB26_2
; %bb.1:
	s_load_dword s7, s[22:23], 0xc
.LBB26_2:
	s_or_saveexec_b64 s[8:9], s[2:3]
	s_load_dwordx2 s[20:21], s[4:5], 0xd0
	s_waitcnt lgkmcnt(0)
	v_mov_b32_e32 v4, s7
	s_xor_b64 exec, exec, s[8:9]
	s_cbranch_execz .LBB26_16
; %bb.3:
	s_load_dword s7, s[22:23], 0xc
	v_mov_b32_e32 v2, s19
	s_mov_b32 s13, 0
	s_waitcnt lgkmcnt(0)
	s_and_b32 s12, s7, 0xffff
	v_add_co_u32_e32 v4, vcc, s12, v0
	v_addc_co_u32_e64 v5, s[2:3], 0, 0, vcc
	v_cmp_gt_i64_e32 vcc, s[18:19], v[4:5]
	v_cndmask_b32_e32 v6, v5, v2, vcc
	v_mov_b32_e32 v2, s18
	v_cndmask_b32_e32 v3, v4, v2, vcc
	v_cndmask_b32_e64 v2, 0, 1, vcc
	v_add_co_u32_e32 v4, vcc, v4, v2
	v_addc_co_u32_e32 v5, vcc, 0, v5, vcc
	v_sub_co_u32_e32 v3, vcc, v3, v4
	v_subb_co_u32_e32 v5, vcc, v6, v5, vcc
	v_mov_b32_e32 v4, 0
	v_cmp_ne_u64_e32 vcc, 0, v[4:5]
                                        ; implicit-def: $vgpr6_vgpr7
	s_and_saveexec_b64 s[2:3], vcc
	s_xor_b64 s[10:11], exec, s[2:3]
	s_cbranch_execz .LBB26_5
; %bb.4:
	v_cvt_f32_u32_e32 v4, s12
	v_mov_b32_e32 v6, 0x4f800000
	s_sub_u32 s2, 0, s12
	s_subb_u32 s3, 0, 0
	v_mac_f32_e32 v4, 0, v6
	v_rcp_f32_e32 v4, v4
	v_mul_f32_e32 v4, 0x5f7ffffc, v4
	v_mul_f32_e32 v6, 0x2f800000, v4
	v_trunc_f32_e32 v6, v6
	v_madmk_f32 v4, v6, 0xcf800000, v4
	v_cvt_u32_f32_e32 v6, v6
	v_cvt_u32_f32_e32 v4, v4
	v_mul_lo_u32 v7, s2, v6
	v_mul_hi_u32 v9, s2, v4
	v_mul_lo_u32 v8, s3, v4
	v_add_u32_e32 v7, v9, v7
	v_mul_lo_u32 v10, s2, v4
	v_add_u32_e32 v7, v7, v8
	v_mul_hi_u32 v9, v4, v10
	v_mul_lo_u32 v11, v4, v7
	v_mul_hi_u32 v8, v4, v7
	v_add_co_u32_e32 v9, vcc, v9, v11
	v_addc_co_u32_e32 v8, vcc, 0, v8, vcc
	v_mul_hi_u32 v12, v6, v10
	v_mul_lo_u32 v10, v6, v10
	v_add_co_u32_e32 v9, vcc, v9, v10
	v_mul_hi_u32 v11, v6, v7
	v_addc_co_u32_e32 v8, vcc, v8, v12, vcc
	v_addc_co_u32_e32 v9, vcc, 0, v11, vcc
	v_mul_lo_u32 v7, v6, v7
	v_add_co_u32_e32 v7, vcc, v8, v7
	v_addc_co_u32_e32 v8, vcc, 0, v9, vcc
	v_add_co_u32_e32 v4, vcc, v4, v7
	v_addc_co_u32_e32 v6, vcc, v6, v8, vcc
	v_mul_lo_u32 v7, s2, v6
	v_mul_hi_u32 v8, s2, v4
	v_add_u32_e32 v7, v8, v7
	v_mul_lo_u32 v8, s3, v4
	v_add_u32_e32 v7, v7, v8
	v_mul_lo_u32 v9, s2, v4
	v_mul_hi_u32 v10, v6, v9
	v_mul_lo_u32 v11, v6, v9
	v_mul_lo_u32 v13, v4, v7
	v_mul_hi_u32 v9, v4, v9
	v_mul_hi_u32 v12, v4, v7
	v_add_co_u32_e32 v9, vcc, v9, v13
	v_addc_co_u32_e32 v12, vcc, 0, v12, vcc
	v_add_co_u32_e32 v9, vcc, v9, v11
	v_mul_hi_u32 v8, v6, v7
	v_addc_co_u32_e32 v9, vcc, v12, v10, vcc
	v_addc_co_u32_e32 v8, vcc, 0, v8, vcc
	v_mul_lo_u32 v7, v6, v7
	v_add_co_u32_e32 v7, vcc, v9, v7
	v_addc_co_u32_e32 v8, vcc, 0, v8, vcc
	v_add_co_u32_e32 v4, vcc, v4, v7
	v_addc_co_u32_e32 v8, vcc, v6, v8, vcc
	v_mad_u64_u32 v[6:7], s[2:3], v3, v8, 0
	v_mul_hi_u32 v9, v3, v4
	v_add_co_u32_e32 v10, vcc, v9, v6
	v_addc_co_u32_e32 v11, vcc, 0, v7, vcc
	v_mad_u64_u32 v[6:7], s[2:3], v5, v8, 0
	v_mad_u64_u32 v[8:9], s[2:3], v5, v4, 0
	v_add_co_u32_e32 v4, vcc, v10, v8
	v_addc_co_u32_e32 v4, vcc, v11, v9, vcc
	v_addc_co_u32_e32 v7, vcc, 0, v7, vcc
	v_add_co_u32_e32 v10, vcc, v4, v6
	v_addc_co_u32_e32 v11, vcc, 0, v7, vcc
	v_mad_u64_u32 v[6:7], s[2:3], s12, v10, 0
	v_mov_b32_e32 v4, v7
	v_mad_u64_u32 v[8:9], s[2:3], s12, v11, v[4:5]
	v_sub_co_u32_e32 v3, vcc, v3, v6
	v_subb_co_u32_e32 v4, vcc, v5, v8, vcc
	v_subrev_co_u32_e32 v5, vcc, s12, v3
	v_subbrev_co_u32_e32 v6, vcc, 0, v4, vcc
	v_cmp_le_u32_e32 vcc, s12, v5
	v_cndmask_b32_e64 v5, 0, -1, vcc
	v_cmp_eq_u32_e32 vcc, 0, v6
	v_cndmask_b32_e32 v5, -1, v5, vcc
	v_add_co_u32_e32 v6, vcc, 2, v10
	v_addc_co_u32_e32 v7, vcc, 0, v11, vcc
	v_add_co_u32_e32 v8, vcc, 1, v10
	v_cmp_le_u32_e64 s[2:3], s12, v3
	v_addc_co_u32_e32 v9, vcc, 0, v11, vcc
	v_cndmask_b32_e64 v3, 0, -1, s[2:3]
	v_cmp_eq_u32_e64 s[2:3], 0, v4
	v_cmp_ne_u32_e32 vcc, 0, v5
	v_cndmask_b32_e64 v3, -1, v3, s[2:3]
	v_cndmask_b32_e32 v5, v9, v7, vcc
	v_cmp_ne_u32_e64 s[2:3], 0, v3
	v_cndmask_b32_e32 v3, v8, v6, vcc
	v_cndmask_b32_e64 v7, v11, v5, s[2:3]
	v_cndmask_b32_e64 v6, v10, v3, s[2:3]
                                        ; implicit-def: $vgpr3
.LBB26_5:
	s_andn2_saveexec_b64 s[2:3], s[10:11]
	s_cbranch_execz .LBB26_7
; %bb.6:
	v_cvt_f32_u32_e32 v4, s12
	s_sub_i32 s10, 0, s12
	v_mov_b32_e32 v7, 0
	v_rcp_iflag_f32_e32 v4, v4
	v_mul_f32_e32 v4, 0x4f7ffffe, v4
	v_cvt_u32_f32_e32 v4, v4
	v_mul_lo_u32 v5, s10, v4
	v_mul_hi_u32 v5, v4, v5
	v_add_u32_e32 v4, v4, v5
	v_mul_hi_u32 v4, v3, v4
	v_mul_lo_u32 v5, v4, s12
	v_sub_u32_e32 v3, v3, v5
	v_add_u32_e32 v6, 1, v4
	v_subrev_u32_e32 v5, s12, v3
	v_cmp_le_u32_e32 vcc, s12, v3
	v_cndmask_b32_e32 v3, v3, v5, vcc
	v_cndmask_b32_e32 v4, v4, v6, vcc
	v_add_u32_e32 v5, 1, v4
	v_cmp_le_u32_e32 vcc, s12, v3
	v_cndmask_b32_e32 v6, v4, v5, vcc
.LBB26_7:
	s_or_b64 exec, exec, s[2:3]
	v_add_co_u32_e32 v2, vcc, v6, v2
	v_addc_co_u32_e32 v3, vcc, 0, v7, vcc
	v_add_co_u32_e32 v4, vcc, 1, v2
	v_addc_co_u32_e32 v5, vcc, 0, v3, vcc
	v_cmp_lt_u64_e32 vcc, 1, v[4:5]
	v_cmp_eq_u16_e64 s[2:3], s7, 1
	s_and_b64 s[24:25], vcc, s[2:3]
	s_mov_b64 s[10:11], -1
	v_pk_mov_b32 v[2:3], v[0:1], v[0:1] op_sel:[0,1]
                                        ; implicit-def: $sgpr14
	s_and_saveexec_b64 s[2:3], s[24:25]
	s_cbranch_execz .LBB26_11
; %bb.8:
	v_and_b32_e32 v6, -2, v4
	v_mov_b32_e32 v7, v5
	v_lshl_add_u32 v8, v0, 2, 0
	s_mov_b64 s[10:11], 0
	v_mov_b32_e32 v9, 0
	v_pk_mov_b32 v[2:3], v[6:7], v[6:7] op_sel:[0,1]
.LBB26_9:                               ; =>This Inner Loop Header: Depth=1
	v_add_co_u32_e32 v2, vcc, -2, v2
	v_addc_co_u32_e32 v3, vcc, -1, v3, vcc
	v_cmp_eq_u64_e32 vcc, 0, v[2:3]
	ds_write2_b32 v8, v9, v9 offset1:1
	s_or_b64 s[10:11], vcc, s[10:11]
	v_add_u32_e32 v8, 8, v8
	s_andn2_b64 exec, exec, s[10:11]
	s_cbranch_execnz .LBB26_9
; %bb.10:
	s_or_b64 exec, exec, s[10:11]
	v_mad_u64_u32 v[2:3], s[10:11], v6, s12, v[0:1]
	v_mov_b32_e32 v8, v3
	v_mad_u64_u32 v[8:9], s[10:11], v7, s12, v[8:9]
	v_cmp_ne_u64_e32 vcc, v[4:5], v[6:7]
	v_mov_b32_e32 v3, v8
	s_mov_b32 s14, 1
	s_orn2_b64 s[10:11], vcc, exec
.LBB26_11:
	s_or_b64 exec, exec, s[2:3]
	v_mov_b32_e32 v4, s14
	s_and_saveexec_b64 s[2:3], s[10:11]
	s_cbranch_execz .LBB26_15
; %bb.12:
	v_lshl_add_u32 v4, v2, 2, 0
	s_lshl_b32 s14, s12, 2
	s_mov_b64 s[10:11], 0
	v_mov_b32_e32 v5, 0
	v_mov_b32_e32 v6, s13
.LBB26_13:                              ; =>This Inner Loop Header: Depth=1
	v_add_co_u32_e32 v2, vcc, s12, v2
	v_addc_co_u32_e32 v3, vcc, v3, v6, vcc
	v_cmp_le_i64_e32 vcc, s[18:19], v[2:3]
	ds_write_b32 v4, v5
	s_or_b64 s[10:11], vcc, s[10:11]
	v_add_u32_e32 v4, s14, v4
	s_andn2_b64 exec, exec, s[10:11]
	s_cbranch_execnz .LBB26_13
; %bb.14:
	s_or_b64 exec, exec, s[10:11]
	v_mov_b32_e32 v4, s7
.LBB26_15:
	s_or_b64 exec, exec, s[2:3]
.LBB26_16:
	s_or_b64 exec, exec, s[8:9]
	s_load_dwordx8 s[8:15], s[4:5], 0x4e0
	v_and_b32_e32 v2, 0xffff, v4
	v_mad_u64_u32 v[4:5], s[2:3], s6, v2, v[0:1]
	v_mov_b32_e32 v6, 0
	v_mov_b32_e32 v5, v6
	s_waitcnt lgkmcnt(0)
	v_cmp_gt_i64_e32 vcc, s[14:15], v[4:5]
	s_barrier
	s_waitcnt lgkmcnt(0)
                                        ; kill: def $vgpr3 killed $sgpr0 killed $exec
	s_and_saveexec_b64 s[6:7], vcc
	s_cbranch_execz .LBB26_32
; %bb.17:
	s_load_dword s26, s[4:5], 0x4d8
	s_add_u32 s27, s4, 0x340
	s_addc_u32 s29, s5, 0
	s_load_dword s28, s[22:23], 0x0
	s_load_dwordx2 s[24:25], s[4:5], 0x340
	s_waitcnt lgkmcnt(0)
	v_mul_lo_u32 v8, s28, v2
	s_load_dwordx2 s[22:23], s[4:5], 0x410
	s_cmp_gt_i32 s26, 1
	s_cselect_b64 s[2:3], -1, 0
	s_sub_u32 s33, s12, s10
	s_subb_u32 s42, s13, s11
	s_mov_b32 s5, 0
	s_add_i32 s4, s26, -1
	s_add_i32 s43, s26, 1
	s_lshl_b64 s[4:5], s[4:5], 3
	s_add_u32 s4, s4, s27
	s_addc_u32 s5, s5, s29
	s_add_u32 s26, s4, 8
	v_cndmask_b32_e64 v3, 0, 1, s[2:3]
	s_addc_u32 s27, s5, 0
	s_mov_b64 s[28:29], 0
	v_cmp_ne_u32_e64 s[2:3], 1, v3
	v_mov_b32_e32 v3, 1.0
	s_branch .LBB26_20
.LBB26_18:                              ;   in Loop: Header=BB26_20 Depth=1
	s_or_b64 exec, exec, s[4:5]
	v_ashrrev_i32_e32 v13, 31, v12
	v_cmp_eq_u64_e32 vcc, s[8:9], v[12:13]
	v_subbrev_co_u32_e32 v7, vcc, 0, v12, vcc
	v_lshl_add_u32 v7, v7, 2, 0
	ds_add_f32 v7, v3
	s_waitcnt lgkmcnt(0)
.LBB26_19:                              ;   in Loop: Header=BB26_20 Depth=1
	s_or_b64 exec, exec, s[30:31]
	v_add_co_u32_e32 v4, vcc, v4, v8
	v_addc_co_u32_e32 v5, vcc, 0, v5, vcc
	v_cmp_le_i64_e32 vcc, s[14:15], v[4:5]
	s_or_b64 s[28:29], vcc, s[28:29]
	s_andn2_b64 exec, exec, s[28:29]
	s_cbranch_execz .LBB26_32
.LBB26_20:                              ; =>This Loop Header: Depth=1
                                        ;     Child Loop BB26_21 Depth 2
	s_and_b64 vcc, exec, s[2:3]
	v_pk_mov_b32 v[10:11], 0, 0
	s_mov_b64 s[30:31], s[26:27]
	s_mov_b32 s44, s43
	v_pk_mov_b32 v[12:13], v[4:5], v[4:5] op_sel:[0,1]
	v_pk_mov_b32 v[14:15], v[4:5], v[4:5] op_sel:[0,1]
	s_cbranch_vccnz .LBB26_27
.LBB26_21:                              ;   Parent Loop BB26_20 Depth=1
                                        ; =>  This Inner Loop Header: Depth=2
	s_load_dwordx2 s[34:35], s[30:31], 0x0
                                        ; implicit-def: $vgpr14_vgpr15
	s_waitcnt lgkmcnt(0)
	v_or_b32_e32 v7, s35, v13
	v_cmp_ne_u64_e32 vcc, 0, v[6:7]
	s_and_saveexec_b64 s[4:5], vcc
	s_xor_b64 s[36:37], exec, s[4:5]
	s_cbranch_execz .LBB26_23
; %bb.22:                               ;   in Loop: Header=BB26_21 Depth=2
	s_ashr_i32 s38, s35, 31
	s_add_u32 s4, s34, s38
	s_mov_b32 s39, s38
	s_addc_u32 s5, s35, s38
	s_xor_b64 s[40:41], s[4:5], s[38:39]
	v_cvt_f32_u32_e32 v7, s40
	v_cvt_f32_u32_e32 v9, s41
	s_sub_u32 s4, 0, s40
	s_subb_u32 s5, 0, s41
	v_mac_f32_e32 v7, 0x4f800000, v9
	v_rcp_f32_e32 v7, v7
	v_mul_f32_e32 v7, 0x5f7ffffc, v7
	v_mul_f32_e32 v9, 0x2f800000, v7
	v_trunc_f32_e32 v9, v9
	v_mac_f32_e32 v7, 0xcf800000, v9
	v_cvt_u32_f32_e32 v9, v9
	v_cvt_u32_f32_e32 v7, v7
	v_mul_lo_u32 v14, s4, v9
	v_mul_hi_u32 v16, s4, v7
	v_mul_lo_u32 v15, s5, v7
	v_add_u32_e32 v14, v16, v14
	v_mul_lo_u32 v17, s4, v7
	v_add_u32_e32 v14, v14, v15
	v_mul_lo_u32 v16, v7, v14
	v_mul_hi_u32 v18, v7, v17
	v_mul_hi_u32 v15, v7, v14
	v_add_co_u32_e32 v16, vcc, v18, v16
	v_addc_co_u32_e32 v15, vcc, 0, v15, vcc
	v_mul_hi_u32 v19, v9, v17
	v_mul_lo_u32 v17, v9, v17
	v_add_co_u32_e32 v16, vcc, v16, v17
	v_mul_hi_u32 v18, v9, v14
	v_addc_co_u32_e32 v15, vcc, v15, v19, vcc
	v_addc_co_u32_e32 v16, vcc, 0, v18, vcc
	v_mul_lo_u32 v14, v9, v14
	v_add_co_u32_e32 v14, vcc, v15, v14
	v_addc_co_u32_e32 v15, vcc, 0, v16, vcc
	v_add_co_u32_e32 v7, vcc, v7, v14
	v_addc_co_u32_e32 v9, vcc, v9, v15, vcc
	v_mul_lo_u32 v14, s4, v9
	v_mul_hi_u32 v15, s4, v7
	v_add_u32_e32 v14, v15, v14
	v_mul_lo_u32 v15, s5, v7
	v_add_u32_e32 v14, v14, v15
	v_mul_lo_u32 v16, s4, v7
	v_mul_hi_u32 v17, v9, v16
	v_mul_lo_u32 v18, v9, v16
	v_mul_lo_u32 v20, v7, v14
	v_mul_hi_u32 v16, v7, v16
	v_mul_hi_u32 v19, v7, v14
	v_add_co_u32_e32 v16, vcc, v16, v20
	v_addc_co_u32_e32 v19, vcc, 0, v19, vcc
	v_add_co_u32_e32 v16, vcc, v16, v18
	v_mul_hi_u32 v15, v9, v14
	v_addc_co_u32_e32 v16, vcc, v19, v17, vcc
	v_addc_co_u32_e32 v15, vcc, 0, v15, vcc
	v_mul_lo_u32 v14, v9, v14
	v_add_co_u32_e32 v14, vcc, v16, v14
	v_addc_co_u32_e32 v15, vcc, 0, v15, vcc
	v_add_co_u32_e32 v7, vcc, v7, v14
	v_addc_co_u32_e32 v9, vcc, v9, v15, vcc
	v_ashrrev_i32_e32 v18, 31, v13
	v_add_co_u32_e32 v14, vcc, v12, v18
	v_addc_co_u32_e32 v15, vcc, v13, v18, vcc
	v_xor_b32_e32 v20, v14, v18
	v_xor_b32_e32 v19, v15, v18
	v_mad_u64_u32 v[14:15], s[4:5], v20, v9, 0
	v_mul_hi_u32 v16, v20, v7
	v_add_co_u32_e32 v21, vcc, v16, v14
	v_addc_co_u32_e32 v22, vcc, 0, v15, vcc
	v_mad_u64_u32 v[16:17], s[4:5], v19, v7, 0
	v_add_co_u32_e32 v7, vcc, v21, v16
	v_mad_u64_u32 v[14:15], s[4:5], v19, v9, 0
	v_addc_co_u32_e32 v7, vcc, v22, v17, vcc
	v_addc_co_u32_e32 v9, vcc, 0, v15, vcc
	v_add_co_u32_e32 v7, vcc, v7, v14
	v_addc_co_u32_e32 v9, vcc, 0, v9, vcc
	v_mul_lo_u32 v16, s41, v7
	v_mul_lo_u32 v17, s40, v9
	v_mad_u64_u32 v[14:15], s[4:5], s40, v7, 0
	v_add3_u32 v15, v15, v17, v16
	v_sub_u32_e32 v16, v19, v15
	v_mov_b32_e32 v17, s41
	v_sub_co_u32_e32 v14, vcc, v20, v14
	v_subb_co_u32_e64 v16, s[4:5], v16, v17, vcc
	v_subrev_co_u32_e64 v17, s[4:5], s40, v14
	v_subbrev_co_u32_e64 v16, s[4:5], 0, v16, s[4:5]
	v_cmp_le_u32_e64 s[4:5], s41, v16
	v_cndmask_b32_e64 v20, 0, -1, s[4:5]
	v_cmp_le_u32_e64 s[4:5], s40, v17
	v_cndmask_b32_e64 v17, 0, -1, s[4:5]
	v_cmp_eq_u32_e64 s[4:5], s41, v16
	v_cndmask_b32_e64 v16, v20, v17, s[4:5]
	v_add_co_u32_e64 v17, s[4:5], 2, v7
	v_subb_co_u32_e32 v15, vcc, v19, v15, vcc
	v_addc_co_u32_e64 v20, s[4:5], 0, v9, s[4:5]
	v_cmp_le_u32_e32 vcc, s41, v15
	v_add_co_u32_e64 v21, s[4:5], 1, v7
	v_cndmask_b32_e64 v19, 0, -1, vcc
	v_cmp_le_u32_e32 vcc, s40, v14
	v_addc_co_u32_e64 v22, s[4:5], 0, v9, s[4:5]
	v_cndmask_b32_e64 v14, 0, -1, vcc
	v_cmp_eq_u32_e32 vcc, s41, v15
	v_cmp_ne_u32_e64 s[4:5], 0, v16
	v_cndmask_b32_e32 v14, v19, v14, vcc
	v_cmp_ne_u32_e32 vcc, 0, v14
	v_cndmask_b32_e64 v14, v21, v17, s[4:5]
	v_cndmask_b32_e64 v16, v22, v20, s[4:5]
	v_cndmask_b32_e32 v7, v7, v14, vcc
	v_xor_b32_e32 v15, s38, v18
	v_cndmask_b32_e32 v9, v9, v16, vcc
	v_xor_b32_e32 v7, v7, v15
	v_xor_b32_e32 v9, v9, v15
	v_sub_co_u32_e32 v14, vcc, v7, v15
	v_subb_co_u32_e32 v15, vcc, v9, v15, vcc
.LBB26_23:                              ;   in Loop: Header=BB26_21 Depth=2
	s_andn2_saveexec_b64 s[4:5], s[36:37]
	s_cbranch_execz .LBB26_25
; %bb.24:                               ;   in Loop: Header=BB26_21 Depth=2
	v_cvt_f32_u32_e32 v7, s34
	s_sub_i32 s36, 0, s34
	v_rcp_iflag_f32_e32 v7, v7
	v_mul_f32_e32 v7, 0x4f7ffffe, v7
	v_cvt_u32_f32_e32 v7, v7
	v_mul_lo_u32 v9, s36, v7
	v_mul_hi_u32 v9, v7, v9
	v_add_u32_e32 v7, v7, v9
	v_mul_hi_u32 v7, v12, v7
	v_mul_lo_u32 v9, v7, s34
	v_sub_u32_e32 v9, v12, v9
	v_add_u32_e32 v14, 1, v7
	v_subrev_u32_e32 v15, s34, v9
	v_cmp_le_u32_e32 vcc, s34, v9
	v_cndmask_b32_e32 v9, v9, v15, vcc
	v_cndmask_b32_e32 v7, v7, v14, vcc
	v_add_u32_e32 v14, 1, v7
	v_cmp_le_u32_e32 vcc, s34, v9
	v_cndmask_b32_e32 v14, v7, v14, vcc
	v_mov_b32_e32 v15, v6
.LBB26_25:                              ;   in Loop: Header=BB26_21 Depth=2
	s_or_b64 exec, exec, s[4:5]
	v_mad_u64_u32 v[16:17], s[4:5], v14, s34, 0
	s_load_dwordx2 s[4:5], s[30:31], 0xc8
	v_mul_lo_u32 v7, v15, s34
	v_mul_lo_u32 v9, v14, s35
	v_add3_u32 v7, v17, v9, v7
	v_sub_co_u32_e32 v9, vcc, v12, v16
	s_add_i32 s44, s44, -1
	v_subb_co_u32_e32 v7, vcc, v13, v7, vcc
	s_add_u32 s30, s30, -8
	s_waitcnt lgkmcnt(0)
	v_mul_lo_u32 v7, s4, v7
	v_mul_lo_u32 v12, s5, v9
	v_mad_u64_u32 v[10:11], s[4:5], s4, v9, v[10:11]
	s_addc_u32 s31, s31, -1
	s_cmp_gt_u32 s44, 2
	v_add3_u32 v11, v12, v11, v7
	s_cbranch_scc0 .LBB26_27
; %bb.26:                               ;   in Loop: Header=BB26_21 Depth=2
	v_pk_mov_b32 v[12:13], v[14:15], v[14:15] op_sel:[0,1]
	s_branch .LBB26_21
.LBB26_27:                              ;   in Loop: Header=BB26_20 Depth=1
	s_waitcnt lgkmcnt(0)
	v_mul_lo_u32 v7, s23, v14
	v_mul_lo_u32 v9, s22, v15
	v_mad_u64_u32 v[12:13], s[4:5], s22, v14, 0
	v_add3_u32 v13, v13, v9, v7
	v_lshlrev_b64 v[12:13], 2, v[12:13]
	v_mov_b32_e32 v7, s25
	v_add_co_u32_e32 v9, vcc, s24, v12
	v_addc_co_u32_e32 v7, vcc, v7, v13, vcc
	v_lshlrev_b64 v[10:11], 2, v[10:11]
	v_add_co_u32_e32 v10, vcc, v9, v10
	v_addc_co_u32_e32 v11, vcc, v7, v11, vcc
	global_load_dword v10, v[10:11], off
	s_waitcnt vmcnt(0)
	v_ashrrev_i32_e32 v11, 31, v10
	v_cmp_le_i64_e32 vcc, s[10:11], v[10:11]
	v_cmp_ge_i64_e64 s[4:5], s[12:13], v[10:11]
	s_and_b64 s[4:5], vcc, s[4:5]
	s_and_saveexec_b64 s[30:31], s[4:5]
	s_cbranch_execz .LBB26_19
; %bb.28:                               ;   in Loop: Header=BB26_20 Depth=1
	v_mov_b32_e32 v7, s11
	v_subrev_co_u32_e32 v9, vcc, s10, v10
	v_subb_co_u32_e32 v7, vcc, v11, v7, vcc
	v_mul_lo_u32 v7, v7, s8
	v_mul_lo_u32 v12, v9, s9
	v_mad_u64_u32 v[10:11], s[4:5], v9, s8, 0
	v_add3_u32 v11, v11, v12, v7
	v_or_b32_e32 v7, s42, v11
	v_cmp_ne_u64_e32 vcc, 0, v[6:7]
                                        ; implicit-def: $vgpr12_vgpr13
	s_and_saveexec_b64 s[4:5], vcc
	s_xor_b64 s[34:35], exec, s[4:5]
	s_cbranch_execz .LBB26_30
; %bb.29:                               ;   in Loop: Header=BB26_20 Depth=1
	s_ashr_i32 s36, s42, 31
	s_add_u32 s4, s33, s36
	s_mov_b32 s37, s36
	s_addc_u32 s5, s42, s36
	s_xor_b64 s[38:39], s[4:5], s[36:37]
	v_cvt_f32_u32_e32 v7, s38
	v_cvt_f32_u32_e32 v9, s39
	s_sub_u32 s4, 0, s38
	s_subb_u32 s5, 0, s39
	v_mac_f32_e32 v7, 0x4f800000, v9
	v_rcp_f32_e32 v7, v7
	v_mul_f32_e32 v7, 0x5f7ffffc, v7
	v_mul_f32_e32 v9, 0x2f800000, v7
	v_trunc_f32_e32 v9, v9
	v_mac_f32_e32 v7, 0xcf800000, v9
	v_cvt_u32_f32_e32 v9, v9
	v_cvt_u32_f32_e32 v7, v7
	v_mul_lo_u32 v12, s4, v9
	v_mul_hi_u32 v14, s4, v7
	v_mul_lo_u32 v13, s5, v7
	v_add_u32_e32 v12, v14, v12
	v_mul_lo_u32 v15, s4, v7
	v_add_u32_e32 v12, v12, v13
	v_mul_lo_u32 v14, v7, v12
	v_mul_hi_u32 v16, v7, v15
	v_mul_hi_u32 v13, v7, v12
	v_add_co_u32_e32 v14, vcc, v16, v14
	v_addc_co_u32_e32 v13, vcc, 0, v13, vcc
	v_mul_hi_u32 v17, v9, v15
	v_mul_lo_u32 v15, v9, v15
	v_add_co_u32_e32 v14, vcc, v14, v15
	v_mul_hi_u32 v16, v9, v12
	v_addc_co_u32_e32 v13, vcc, v13, v17, vcc
	v_addc_co_u32_e32 v14, vcc, 0, v16, vcc
	v_mul_lo_u32 v12, v9, v12
	v_add_co_u32_e32 v12, vcc, v13, v12
	v_addc_co_u32_e32 v13, vcc, 0, v14, vcc
	v_add_co_u32_e32 v7, vcc, v7, v12
	v_addc_co_u32_e32 v9, vcc, v9, v13, vcc
	v_mul_lo_u32 v12, s4, v9
	v_mul_hi_u32 v13, s4, v7
	v_add_u32_e32 v12, v13, v12
	v_mul_lo_u32 v13, s5, v7
	v_add_u32_e32 v12, v12, v13
	v_mul_lo_u32 v14, s4, v7
	v_mul_hi_u32 v15, v9, v14
	v_mul_lo_u32 v16, v9, v14
	v_mul_lo_u32 v18, v7, v12
	v_mul_hi_u32 v14, v7, v14
	v_mul_hi_u32 v17, v7, v12
	v_add_co_u32_e32 v14, vcc, v14, v18
	v_addc_co_u32_e32 v17, vcc, 0, v17, vcc
	v_add_co_u32_e32 v14, vcc, v14, v16
	v_mul_hi_u32 v13, v9, v12
	v_addc_co_u32_e32 v14, vcc, v17, v15, vcc
	v_addc_co_u32_e32 v13, vcc, 0, v13, vcc
	v_mul_lo_u32 v12, v9, v12
	v_add_co_u32_e32 v12, vcc, v14, v12
	v_addc_co_u32_e32 v13, vcc, 0, v13, vcc
	v_add_co_u32_e32 v7, vcc, v7, v12
	v_addc_co_u32_e32 v9, vcc, v9, v13, vcc
	v_ashrrev_i32_e32 v14, 31, v11
	v_add_co_u32_e32 v10, vcc, v10, v14
	v_addc_co_u32_e32 v11, vcc, v11, v14, vcc
	v_xor_b32_e32 v16, v10, v14
	v_xor_b32_e32 v15, v11, v14
	v_mad_u64_u32 v[10:11], s[4:5], v16, v9, 0
	v_mul_hi_u32 v12, v16, v7
	v_add_co_u32_e32 v17, vcc, v12, v10
	v_addc_co_u32_e32 v18, vcc, 0, v11, vcc
	v_mad_u64_u32 v[12:13], s[4:5], v15, v7, 0
	v_add_co_u32_e32 v7, vcc, v17, v12
	v_mad_u64_u32 v[10:11], s[4:5], v15, v9, 0
	v_addc_co_u32_e32 v7, vcc, v18, v13, vcc
	v_addc_co_u32_e32 v9, vcc, 0, v11, vcc
	v_add_co_u32_e32 v7, vcc, v7, v10
	v_addc_co_u32_e32 v9, vcc, 0, v9, vcc
	v_mul_lo_u32 v12, s39, v7
	v_mul_lo_u32 v9, s38, v9
	v_mad_u64_u32 v[10:11], s[4:5], s38, v7, 0
	v_add3_u32 v9, v11, v9, v12
	v_sub_u32_e32 v11, v15, v9
	v_mov_b32_e32 v12, s39
	v_sub_co_u32_e32 v10, vcc, v16, v10
	v_subb_co_u32_e64 v11, s[4:5], v11, v12, vcc
	v_subrev_co_u32_e64 v12, s[4:5], s38, v10
	v_subbrev_co_u32_e64 v11, s[4:5], 0, v11, s[4:5]
	v_cmp_le_u32_e64 s[4:5], s39, v11
	v_subb_co_u32_e32 v9, vcc, v15, v9, vcc
	v_cndmask_b32_e64 v13, 0, -1, s[4:5]
	v_cmp_le_u32_e64 s[4:5], s38, v12
	v_cmp_le_u32_e32 vcc, s39, v9
	v_cndmask_b32_e64 v12, 0, -1, s[4:5]
	v_cmp_eq_u32_e64 s[4:5], s39, v11
	v_cndmask_b32_e64 v15, 0, -1, vcc
	v_cmp_le_u32_e32 vcc, s38, v10
	v_cndmask_b32_e64 v11, v13, v12, s[4:5]
	v_cndmask_b32_e64 v10, 0, -1, vcc
	v_cmp_eq_u32_e32 vcc, s39, v9
	v_add_co_u32_e64 v12, s[4:5], 2, v7
	v_add_co_u32_e64 v13, s[4:5], 1, v7
	v_cndmask_b32_e32 v9, v15, v10, vcc
	v_cmp_ne_u32_e32 vcc, 0, v11
	v_cndmask_b32_e32 v10, v13, v12, vcc
	v_cmp_ne_u32_e32 vcc, 0, v9
	v_cndmask_b32_e32 v7, v7, v10, vcc
	v_xor_b32_e32 v9, s36, v14
	v_xor_b32_e32 v7, v7, v9
	v_sub_co_u32_e32 v12, vcc, v7, v9
                                        ; implicit-def: $vgpr10_vgpr11
.LBB26_30:                              ;   in Loop: Header=BB26_20 Depth=1
	s_andn2_saveexec_b64 s[4:5], s[34:35]
	s_cbranch_execz .LBB26_18
; %bb.31:                               ;   in Loop: Header=BB26_20 Depth=1
	v_cvt_f32_u32_e32 v7, s33
	s_sub_i32 s34, 0, s33
	v_rcp_iflag_f32_e32 v7, v7
	v_mul_f32_e32 v7, 0x4f7ffffe, v7
	v_cvt_u32_f32_e32 v7, v7
	v_mul_lo_u32 v9, s34, v7
	v_mul_hi_u32 v9, v7, v9
	v_add_u32_e32 v7, v7, v9
	v_mul_hi_u32 v7, v10, v7
	v_mul_lo_u32 v9, v7, s33
	v_sub_u32_e32 v9, v10, v9
	v_add_u32_e32 v11, 1, v7
	v_subrev_u32_e32 v10, s33, v9
	v_cmp_le_u32_e32 vcc, s33, v9
	v_cndmask_b32_e32 v9, v9, v10, vcc
	v_cndmask_b32_e32 v7, v7, v11, vcc
	v_add_u32_e32 v10, 1, v7
	v_cmp_le_u32_e32 vcc, s33, v9
	v_cndmask_b32_e32 v12, v7, v10, vcc
	s_branch .LBB26_18
.LBB26_32:
	s_or_b64 exec, exec, s[6:7]
; %bb.33:
	s_barrier
	s_and_saveexec_b64 s[2:3], s[0:1]
	s_cbranch_execz .LBB26_36
; %bb.34:
	v_mad_u64_u32 v[4:5], s[0:1], s20, v0, 0
	v_mov_b32_e32 v6, v5
	v_mad_u64_u32 v[6:7], s[0:1], s21, v0, v[6:7]
	v_mov_b32_e32 v5, v6
	;; [unrolled: 2-line block ×3, first 2 shown]
	v_lshlrev_b64 v[4:5], 2, v[4:5]
	v_mad_u64_u32 v[8:9], s[0:1], s21, v2, v[8:9]
	v_mov_b32_e32 v3, s17
	v_add_co_u32_e32 v4, vcc, s16, v4
	v_mov_b32_e32 v7, v8
	v_addc_co_u32_e32 v5, vcc, v3, v5, vcc
	v_lshlrev_b64 v[6:7], 2, v[6:7]
	v_lshl_add_u32 v3, v0, 2, 0
	v_lshlrev_b32_e32 v8, 2, v2
	s_mov_b64 s[0:1], 0
.LBB26_35:                              ; =>This Inner Loop Header: Depth=1
	ds_read_b32 v9, v3
	v_add_co_u32_e32 v0, vcc, v0, v2
	v_addc_co_u32_e32 v1, vcc, 0, v1, vcc
	s_waitcnt lgkmcnt(0)
	global_atomic_add_f32 v[4:5], v9, off
	v_cmp_le_i64_e32 vcc, s[18:19], v[0:1]
	s_or_b64 s[0:1], vcc, s[0:1]
	v_add_co_u32_e32 v4, vcc, v4, v6
	v_add_u32_e32 v3, v3, v8
	v_addc_co_u32_e32 v5, vcc, v5, v7, vcc
	s_andn2_b64 exec, exec, s[0:1]
	s_cbranch_execnz .LBB26_35
.LBB26_36:
	s_endpgm
	.section	.rodata,"a",@progbits
	.p2align	6, 0x0
	.amdhsa_kernel _ZN2at4cuda17kernelHistogram1DIfilLi1ELi2ELin1ELNS0_23CUDAHistogramMemoryTypeE0EZNS0_21CUDA_tensor_histogramIfiLb1EEEbNS_6TensorES4_S4_lNS_14AccumulateTypeIT0_Lb1EE4typeES8_NS0_13TensorArgTypeES9_S9_EUllE0_EEvNS0_6detail10TensorInfoIT_T1_EESF_NSC_IKS6_SE_EElS8_S8_SE_T6_
		.amdhsa_group_segment_fixed_size 0
		.amdhsa_private_segment_fixed_size 0
		.amdhsa_kernarg_size 1544
		.amdhsa_user_sgpr_count 6
		.amdhsa_user_sgpr_private_segment_buffer 1
		.amdhsa_user_sgpr_dispatch_ptr 0
		.amdhsa_user_sgpr_queue_ptr 0
		.amdhsa_user_sgpr_kernarg_segment_ptr 1
		.amdhsa_user_sgpr_dispatch_id 0
		.amdhsa_user_sgpr_flat_scratch_init 0
		.amdhsa_user_sgpr_kernarg_preload_length 0
		.amdhsa_user_sgpr_kernarg_preload_offset 0
		.amdhsa_user_sgpr_private_segment_size 0
		.amdhsa_uses_dynamic_stack 0
		.amdhsa_system_sgpr_private_segment_wavefront_offset 0
		.amdhsa_system_sgpr_workgroup_id_x 1
		.amdhsa_system_sgpr_workgroup_id_y 0
		.amdhsa_system_sgpr_workgroup_id_z 0
		.amdhsa_system_sgpr_workgroup_info 0
		.amdhsa_system_vgpr_workitem_id 0
		.amdhsa_next_free_vgpr 23
		.amdhsa_next_free_sgpr 45
		.amdhsa_accum_offset 24
		.amdhsa_reserve_vcc 1
		.amdhsa_reserve_flat_scratch 0
		.amdhsa_float_round_mode_32 0
		.amdhsa_float_round_mode_16_64 0
		.amdhsa_float_denorm_mode_32 3
		.amdhsa_float_denorm_mode_16_64 3
		.amdhsa_dx10_clamp 1
		.amdhsa_ieee_mode 1
		.amdhsa_fp16_overflow 0
		.amdhsa_tg_split 0
		.amdhsa_exception_fp_ieee_invalid_op 0
		.amdhsa_exception_fp_denorm_src 0
		.amdhsa_exception_fp_ieee_div_zero 0
		.amdhsa_exception_fp_ieee_overflow 0
		.amdhsa_exception_fp_ieee_underflow 0
		.amdhsa_exception_fp_ieee_inexact 0
		.amdhsa_exception_int_div_zero 0
	.end_amdhsa_kernel
	.section	.text._ZN2at4cuda17kernelHistogram1DIfilLi1ELi2ELin1ELNS0_23CUDAHistogramMemoryTypeE0EZNS0_21CUDA_tensor_histogramIfiLb1EEEbNS_6TensorES4_S4_lNS_14AccumulateTypeIT0_Lb1EE4typeES8_NS0_13TensorArgTypeES9_S9_EUllE0_EEvNS0_6detail10TensorInfoIT_T1_EESF_NSC_IKS6_SE_EElS8_S8_SE_T6_,"axG",@progbits,_ZN2at4cuda17kernelHistogram1DIfilLi1ELi2ELin1ELNS0_23CUDAHistogramMemoryTypeE0EZNS0_21CUDA_tensor_histogramIfiLb1EEEbNS_6TensorES4_S4_lNS_14AccumulateTypeIT0_Lb1EE4typeES8_NS0_13TensorArgTypeES9_S9_EUllE0_EEvNS0_6detail10TensorInfoIT_T1_EESF_NSC_IKS6_SE_EElS8_S8_SE_T6_,comdat
.Lfunc_end26:
	.size	_ZN2at4cuda17kernelHistogram1DIfilLi1ELi2ELin1ELNS0_23CUDAHistogramMemoryTypeE0EZNS0_21CUDA_tensor_histogramIfiLb1EEEbNS_6TensorES4_S4_lNS_14AccumulateTypeIT0_Lb1EE4typeES8_NS0_13TensorArgTypeES9_S9_EUllE0_EEvNS0_6detail10TensorInfoIT_T1_EESF_NSC_IKS6_SE_EElS8_S8_SE_T6_, .Lfunc_end26-_ZN2at4cuda17kernelHistogram1DIfilLi1ELi2ELin1ELNS0_23CUDAHistogramMemoryTypeE0EZNS0_21CUDA_tensor_histogramIfiLb1EEEbNS_6TensorES4_S4_lNS_14AccumulateTypeIT0_Lb1EE4typeES8_NS0_13TensorArgTypeES9_S9_EUllE0_EEvNS0_6detail10TensorInfoIT_T1_EESF_NSC_IKS6_SE_EElS8_S8_SE_T6_
                                        ; -- End function
	.section	.AMDGPU.csdata,"",@progbits
; Kernel info:
; codeLenInByte = 3380
; NumSgprs: 49
; NumVgprs: 23
; NumAgprs: 0
; TotalNumVgprs: 23
; ScratchSize: 0
; MemoryBound: 0
; FloatMode: 240
; IeeeMode: 1
; LDSByteSize: 0 bytes/workgroup (compile time only)
; SGPRBlocks: 6
; VGPRBlocks: 2
; NumSGPRsForWavesPerEU: 49
; NumVGPRsForWavesPerEU: 23
; AccumOffset: 24
; Occupancy: 8
; WaveLimiterHint : 1
; COMPUTE_PGM_RSRC2:SCRATCH_EN: 0
; COMPUTE_PGM_RSRC2:USER_SGPR: 6
; COMPUTE_PGM_RSRC2:TRAP_HANDLER: 0
; COMPUTE_PGM_RSRC2:TGID_X_EN: 1
; COMPUTE_PGM_RSRC2:TGID_Y_EN: 0
; COMPUTE_PGM_RSRC2:TGID_Z_EN: 0
; COMPUTE_PGM_RSRC2:TIDIG_COMP_CNT: 0
; COMPUTE_PGM_RSRC3_GFX90A:ACCUM_OFFSET: 5
; COMPUTE_PGM_RSRC3_GFX90A:TG_SPLIT: 0
	.section	.text._ZN2at4cuda17kernelHistogram1DIfilLi1ELi2ELin1ELNS0_23CUDAHistogramMemoryTypeE1EZNS0_21CUDA_tensor_histogramIfiLb1EEEbNS_6TensorES4_S4_lNS_14AccumulateTypeIT0_Lb1EE4typeES8_NS0_13TensorArgTypeES9_S9_EUllE0_EEvNS0_6detail10TensorInfoIT_T1_EESF_NSC_IKS6_SE_EElS8_S8_SE_T6_,"axG",@progbits,_ZN2at4cuda17kernelHistogram1DIfilLi1ELi2ELin1ELNS0_23CUDAHistogramMemoryTypeE1EZNS0_21CUDA_tensor_histogramIfiLb1EEEbNS_6TensorES4_S4_lNS_14AccumulateTypeIT0_Lb1EE4typeES8_NS0_13TensorArgTypeES9_S9_EUllE0_EEvNS0_6detail10TensorInfoIT_T1_EESF_NSC_IKS6_SE_EElS8_S8_SE_T6_,comdat
	.protected	_ZN2at4cuda17kernelHistogram1DIfilLi1ELi2ELin1ELNS0_23CUDAHistogramMemoryTypeE1EZNS0_21CUDA_tensor_histogramIfiLb1EEEbNS_6TensorES4_S4_lNS_14AccumulateTypeIT0_Lb1EE4typeES8_NS0_13TensorArgTypeES9_S9_EUllE0_EEvNS0_6detail10TensorInfoIT_T1_EESF_NSC_IKS6_SE_EElS8_S8_SE_T6_ ; -- Begin function _ZN2at4cuda17kernelHistogram1DIfilLi1ELi2ELin1ELNS0_23CUDAHistogramMemoryTypeE1EZNS0_21CUDA_tensor_histogramIfiLb1EEEbNS_6TensorES4_S4_lNS_14AccumulateTypeIT0_Lb1EE4typeES8_NS0_13TensorArgTypeES9_S9_EUllE0_EEvNS0_6detail10TensorInfoIT_T1_EESF_NSC_IKS6_SE_EElS8_S8_SE_T6_
	.globl	_ZN2at4cuda17kernelHistogram1DIfilLi1ELi2ELin1ELNS0_23CUDAHistogramMemoryTypeE1EZNS0_21CUDA_tensor_histogramIfiLb1EEEbNS_6TensorES4_S4_lNS_14AccumulateTypeIT0_Lb1EE4typeES8_NS0_13TensorArgTypeES9_S9_EUllE0_EEvNS0_6detail10TensorInfoIT_T1_EESF_NSC_IKS6_SE_EElS8_S8_SE_T6_
	.p2align	8
	.type	_ZN2at4cuda17kernelHistogram1DIfilLi1ELi2ELin1ELNS0_23CUDAHistogramMemoryTypeE1EZNS0_21CUDA_tensor_histogramIfiLb1EEEbNS_6TensorES4_S4_lNS_14AccumulateTypeIT0_Lb1EE4typeES8_NS0_13TensorArgTypeES9_S9_EUllE0_EEvNS0_6detail10TensorInfoIT_T1_EESF_NSC_IKS6_SE_EElS8_S8_SE_T6_,@function
_ZN2at4cuda17kernelHistogram1DIfilLi1ELi2ELin1ELNS0_23CUDAHistogramMemoryTypeE1EZNS0_21CUDA_tensor_histogramIfiLb1EEEbNS_6TensorES4_S4_lNS_14AccumulateTypeIT0_Lb1EE4typeES8_NS0_13TensorArgTypeES9_S9_EUllE0_EEvNS0_6detail10TensorInfoIT_T1_EESF_NSC_IKS6_SE_EElS8_S8_SE_T6_: ; @_ZN2at4cuda17kernelHistogram1DIfilLi1ELi2ELin1ELNS0_23CUDAHistogramMemoryTypeE1EZNS0_21CUDA_tensor_histogramIfiLb1EEEbNS_6TensorES4_S4_lNS_14AccumulateTypeIT0_Lb1EE4typeES8_NS0_13TensorArgTypeES9_S9_EUllE0_EEvNS0_6detail10TensorInfoIT_T1_EESF_NSC_IKS6_SE_EElS8_S8_SE_T6_
; %bb.0:
	s_load_dword s2, s[4:5], 0x514
	s_load_dwordx8 s[8:15], s[4:5], 0x4e0
	s_add_u32 s0, s4, 0x508
	s_addc_u32 s1, s5, 0
	v_mov_b32_e32 v2, 0
	s_waitcnt lgkmcnt(0)
	s_and_b32 s2, s2, 0xffff
	s_mul_i32 s6, s6, s2
	v_add_u32_e32 v0, s6, v0
	v_mov_b32_e32 v1, v2
	v_cmp_gt_i64_e32 vcc, s[14:15], v[0:1]
	s_and_saveexec_b64 s[6:7], vcc
	s_cbranch_execz .LBB27_16
; %bb.1:
	s_load_dword s3, s[4:5], 0x4d8
	s_load_dwordx2 s[6:7], s[4:5], 0x0
	s_load_dwordx2 s[16:17], s[4:5], 0xd0
	s_load_dword s24, s[0:1], 0x0
	s_add_u32 s22, s4, 0x340
	s_addc_u32 s23, s5, 0
	s_mov_b32 s38, 0
	s_waitcnt lgkmcnt(0)
	s_cmp_gt_i32 s3, 1
	s_cselect_b64 s[0:1], -1, 0
	s_sub_u32 s33, s12, s10
	s_subb_u32 s36, s13, s11
	s_mul_i32 s37, s24, s2
	s_add_i32 s39, s3, 1
	s_add_i32 s2, s3, -1
	s_mov_b32 s3, s38
	s_load_dwordx2 s[18:19], s[4:5], 0x410
	s_load_dwordx2 s[20:21], s[4:5], 0x340
	s_lshl_b64 s[2:3], s[2:3], 3
	s_add_u32 s2, s2, s22
	s_addc_u32 s3, s3, s23
	s_add_u32 s4, s2, 8
	v_cndmask_b32_e64 v3, 0, 1, s[0:1]
	s_addc_u32 s5, s3, 0
	s_mov_b64 s[22:23], 0
	v_cmp_ne_u32_e64 s[0:1], 1, v3
	v_mov_b32_e32 v10, 1.0
	s_branch .LBB27_4
.LBB27_2:                               ;   in Loop: Header=BB27_4 Depth=1
	s_or_b64 exec, exec, s[2:3]
	v_ashrrev_i32_e32 v7, 31, v6
	v_cmp_eq_u64_e32 vcc, s[8:9], v[6:7]
	v_cndmask_b32_e64 v3, 0, 1, vcc
	v_sub_co_u32_e32 v3, vcc, v6, v3
	v_subbrev_co_u32_e32 v4, vcc, 0, v7, vcc
	v_mul_lo_u32 v6, v4, s16
	v_mul_lo_u32 v7, v3, s17
	v_mad_u64_u32 v[4:5], s[2:3], v3, s16, 0
	v_add3_u32 v5, v5, v7, v6
	v_lshlrev_b64 v[4:5], 2, v[4:5]
	v_mov_b32_e32 v3, s7
	v_add_co_u32_e32 v4, vcc, s6, v4
	v_addc_co_u32_e32 v5, vcc, v3, v5, vcc
	global_atomic_add_f32 v[4:5], v10, off
.LBB27_3:                               ;   in Loop: Header=BB27_4 Depth=1
	s_or_b64 exec, exec, s[24:25]
	v_mov_b32_e32 v3, s38
	v_add_co_u32_e32 v0, vcc, s37, v0
	v_addc_co_u32_e32 v1, vcc, v1, v3, vcc
	v_cmp_le_i64_e32 vcc, s[14:15], v[0:1]
	s_or_b64 s[22:23], vcc, s[22:23]
	s_andn2_b64 exec, exec, s[22:23]
	s_cbranch_execz .LBB27_16
.LBB27_4:                               ; =>This Loop Header: Depth=1
                                        ;     Child Loop BB27_5 Depth 2
	s_and_b64 vcc, exec, s[0:1]
	v_pk_mov_b32 v[4:5], 0, 0
	s_mov_b64 s[24:25], s[4:5]
	s_mov_b32 s40, s39
	v_pk_mov_b32 v[6:7], v[0:1], v[0:1] op_sel:[0,1]
	v_pk_mov_b32 v[8:9], v[0:1], v[0:1] op_sel:[0,1]
	s_cbranch_vccnz .LBB27_11
.LBB27_5:                               ;   Parent Loop BB27_4 Depth=1
                                        ; =>  This Inner Loop Header: Depth=2
	s_load_dwordx2 s[26:27], s[24:25], 0x0
                                        ; implicit-def: $vgpr8_vgpr9
	s_waitcnt lgkmcnt(0)
	v_or_b32_e32 v3, s27, v7
	v_cmp_ne_u64_e32 vcc, 0, v[2:3]
	s_and_saveexec_b64 s[2:3], vcc
	s_xor_b64 s[28:29], exec, s[2:3]
	s_cbranch_execz .LBB27_7
; %bb.6:                                ;   in Loop: Header=BB27_5 Depth=2
	s_ashr_i32 s30, s27, 31
	s_add_u32 s2, s26, s30
	s_mov_b32 s31, s30
	s_addc_u32 s3, s27, s30
	s_xor_b64 s[34:35], s[2:3], s[30:31]
	v_cvt_f32_u32_e32 v3, s34
	v_cvt_f32_u32_e32 v8, s35
	s_sub_u32 s2, 0, s34
	s_subb_u32 s3, 0, s35
	v_mac_f32_e32 v3, 0x4f800000, v8
	v_rcp_f32_e32 v3, v3
	v_mul_f32_e32 v3, 0x5f7ffffc, v3
	v_mul_f32_e32 v8, 0x2f800000, v3
	v_trunc_f32_e32 v8, v8
	v_mac_f32_e32 v3, 0xcf800000, v8
	v_cvt_u32_f32_e32 v8, v8
	v_cvt_u32_f32_e32 v3, v3
	v_mul_lo_u32 v9, s2, v8
	v_mul_hi_u32 v12, s2, v3
	v_mul_lo_u32 v11, s3, v3
	v_add_u32_e32 v9, v12, v9
	v_mul_lo_u32 v13, s2, v3
	v_add_u32_e32 v9, v9, v11
	v_mul_lo_u32 v12, v3, v9
	v_mul_hi_u32 v14, v3, v13
	v_mul_hi_u32 v11, v3, v9
	v_add_co_u32_e32 v12, vcc, v14, v12
	v_addc_co_u32_e32 v11, vcc, 0, v11, vcc
	v_mul_hi_u32 v15, v8, v13
	v_mul_lo_u32 v13, v8, v13
	v_add_co_u32_e32 v12, vcc, v12, v13
	v_mul_hi_u32 v14, v8, v9
	v_addc_co_u32_e32 v11, vcc, v11, v15, vcc
	v_addc_co_u32_e32 v12, vcc, 0, v14, vcc
	v_mul_lo_u32 v9, v8, v9
	v_add_co_u32_e32 v9, vcc, v11, v9
	v_addc_co_u32_e32 v11, vcc, 0, v12, vcc
	v_add_co_u32_e32 v3, vcc, v3, v9
	v_addc_co_u32_e32 v8, vcc, v8, v11, vcc
	v_mul_lo_u32 v9, s2, v8
	v_mul_hi_u32 v11, s2, v3
	v_add_u32_e32 v9, v11, v9
	v_mul_lo_u32 v11, s3, v3
	v_add_u32_e32 v9, v9, v11
	v_mul_lo_u32 v12, s2, v3
	v_mul_hi_u32 v13, v8, v12
	v_mul_lo_u32 v14, v8, v12
	v_mul_lo_u32 v16, v3, v9
	v_mul_hi_u32 v12, v3, v12
	v_mul_hi_u32 v15, v3, v9
	v_add_co_u32_e32 v12, vcc, v12, v16
	v_addc_co_u32_e32 v15, vcc, 0, v15, vcc
	v_add_co_u32_e32 v12, vcc, v12, v14
	v_mul_hi_u32 v11, v8, v9
	v_addc_co_u32_e32 v12, vcc, v15, v13, vcc
	v_addc_co_u32_e32 v11, vcc, 0, v11, vcc
	v_mul_lo_u32 v9, v8, v9
	v_add_co_u32_e32 v9, vcc, v12, v9
	v_addc_co_u32_e32 v11, vcc, 0, v11, vcc
	v_add_co_u32_e32 v3, vcc, v3, v9
	v_addc_co_u32_e32 v11, vcc, v8, v11, vcc
	v_ashrrev_i32_e32 v14, 31, v7
	v_add_co_u32_e32 v8, vcc, v6, v14
	v_addc_co_u32_e32 v9, vcc, v7, v14, vcc
	v_xor_b32_e32 v16, v8, v14
	v_xor_b32_e32 v15, v9, v14
	v_mad_u64_u32 v[8:9], s[2:3], v16, v11, 0
	v_mul_hi_u32 v12, v16, v3
	v_add_co_u32_e32 v17, vcc, v12, v8
	v_addc_co_u32_e32 v18, vcc, 0, v9, vcc
	v_mad_u64_u32 v[12:13], s[2:3], v15, v3, 0
	v_add_co_u32_e32 v3, vcc, v17, v12
	v_mad_u64_u32 v[8:9], s[2:3], v15, v11, 0
	v_addc_co_u32_e32 v3, vcc, v18, v13, vcc
	v_addc_co_u32_e32 v9, vcc, 0, v9, vcc
	v_add_co_u32_e32 v3, vcc, v3, v8
	v_addc_co_u32_e32 v11, vcc, 0, v9, vcc
	v_mul_lo_u32 v12, s35, v3
	v_mul_lo_u32 v13, s34, v11
	v_mad_u64_u32 v[8:9], s[2:3], s34, v3, 0
	v_add3_u32 v9, v9, v13, v12
	v_sub_u32_e32 v12, v15, v9
	v_mov_b32_e32 v13, s35
	v_sub_co_u32_e32 v8, vcc, v16, v8
	v_subb_co_u32_e64 v12, s[2:3], v12, v13, vcc
	v_subrev_co_u32_e64 v13, s[2:3], s34, v8
	v_subbrev_co_u32_e64 v12, s[2:3], 0, v12, s[2:3]
	v_cmp_le_u32_e64 s[2:3], s35, v12
	v_cndmask_b32_e64 v16, 0, -1, s[2:3]
	v_cmp_le_u32_e64 s[2:3], s34, v13
	v_cndmask_b32_e64 v13, 0, -1, s[2:3]
	v_cmp_eq_u32_e64 s[2:3], s35, v12
	v_cndmask_b32_e64 v12, v16, v13, s[2:3]
	v_add_co_u32_e64 v13, s[2:3], 2, v3
	v_subb_co_u32_e32 v9, vcc, v15, v9, vcc
	v_addc_co_u32_e64 v16, s[2:3], 0, v11, s[2:3]
	v_cmp_le_u32_e32 vcc, s35, v9
	v_add_co_u32_e64 v17, s[2:3], 1, v3
	v_cndmask_b32_e64 v15, 0, -1, vcc
	v_cmp_le_u32_e32 vcc, s34, v8
	v_addc_co_u32_e64 v18, s[2:3], 0, v11, s[2:3]
	v_cndmask_b32_e64 v8, 0, -1, vcc
	v_cmp_eq_u32_e32 vcc, s35, v9
	v_cmp_ne_u32_e64 s[2:3], 0, v12
	v_cndmask_b32_e32 v8, v15, v8, vcc
	v_cmp_ne_u32_e32 vcc, 0, v8
	v_cndmask_b32_e64 v9, v17, v13, s[2:3]
	v_cndmask_b32_e64 v12, v18, v16, s[2:3]
	v_cndmask_b32_e32 v3, v3, v9, vcc
	v_xor_b32_e32 v9, s30, v14
	v_cndmask_b32_e32 v8, v11, v12, vcc
	v_xor_b32_e32 v3, v3, v9
	v_xor_b32_e32 v11, v8, v9
	v_sub_co_u32_e32 v8, vcc, v3, v9
	v_subb_co_u32_e32 v9, vcc, v11, v9, vcc
.LBB27_7:                               ;   in Loop: Header=BB27_5 Depth=2
	s_andn2_saveexec_b64 s[2:3], s[28:29]
	s_cbranch_execz .LBB27_9
; %bb.8:                                ;   in Loop: Header=BB27_5 Depth=2
	v_cvt_f32_u32_e32 v3, s26
	s_sub_i32 s28, 0, s26
	v_rcp_iflag_f32_e32 v3, v3
	v_mul_f32_e32 v3, 0x4f7ffffe, v3
	v_cvt_u32_f32_e32 v3, v3
	v_mul_lo_u32 v8, s28, v3
	v_mul_hi_u32 v8, v3, v8
	v_add_u32_e32 v3, v3, v8
	v_mul_hi_u32 v3, v6, v3
	v_mul_lo_u32 v8, v3, s26
	v_sub_u32_e32 v8, v6, v8
	v_add_u32_e32 v9, 1, v3
	v_subrev_u32_e32 v11, s26, v8
	v_cmp_le_u32_e32 vcc, s26, v8
	v_cndmask_b32_e32 v8, v8, v11, vcc
	v_cndmask_b32_e32 v3, v3, v9, vcc
	v_add_u32_e32 v9, 1, v3
	v_cmp_le_u32_e32 vcc, s26, v8
	v_cndmask_b32_e32 v8, v3, v9, vcc
	v_mov_b32_e32 v9, v2
.LBB27_9:                               ;   in Loop: Header=BB27_5 Depth=2
	s_or_b64 exec, exec, s[2:3]
	v_mad_u64_u32 v[12:13], s[2:3], v8, s26, 0
	s_load_dwordx2 s[2:3], s[24:25], 0xc8
	v_mul_lo_u32 v3, v9, s26
	v_mul_lo_u32 v11, v8, s27
	v_add3_u32 v3, v13, v11, v3
	v_sub_co_u32_e32 v6, vcc, v6, v12
	s_add_i32 s40, s40, -1
	v_subb_co_u32_e32 v3, vcc, v7, v3, vcc
	s_add_u32 s24, s24, -8
	s_waitcnt lgkmcnt(0)
	v_mul_lo_u32 v3, s2, v3
	v_mul_lo_u32 v7, s3, v6
	v_mad_u64_u32 v[4:5], s[2:3], s2, v6, v[4:5]
	s_addc_u32 s25, s25, -1
	s_cmp_gt_u32 s40, 2
	v_add3_u32 v5, v7, v5, v3
	s_cbranch_scc0 .LBB27_11
; %bb.10:                               ;   in Loop: Header=BB27_5 Depth=2
	v_pk_mov_b32 v[6:7], v[8:9], v[8:9] op_sel:[0,1]
	s_branch .LBB27_5
.LBB27_11:                              ;   in Loop: Header=BB27_4 Depth=1
	s_waitcnt lgkmcnt(0)
	v_mul_lo_u32 v3, s19, v8
	v_mul_lo_u32 v9, s18, v9
	v_mad_u64_u32 v[6:7], s[2:3], s18, v8, 0
	v_add3_u32 v7, v7, v9, v3
	v_lshlrev_b64 v[6:7], 2, v[6:7]
	v_mov_b32_e32 v3, s21
	v_add_co_u32_e32 v6, vcc, s20, v6
	v_addc_co_u32_e32 v3, vcc, v3, v7, vcc
	v_lshlrev_b64 v[4:5], 2, v[4:5]
	v_add_co_u32_e32 v4, vcc, v6, v4
	v_addc_co_u32_e32 v5, vcc, v3, v5, vcc
	global_load_dword v4, v[4:5], off
	s_waitcnt vmcnt(0)
	v_ashrrev_i32_e32 v5, 31, v4
	v_cmp_le_i64_e32 vcc, s[10:11], v[4:5]
	v_cmp_ge_i64_e64 s[2:3], s[12:13], v[4:5]
	s_and_b64 s[2:3], vcc, s[2:3]
	s_and_saveexec_b64 s[24:25], s[2:3]
	s_cbranch_execz .LBB27_3
; %bb.12:                               ;   in Loop: Header=BB27_4 Depth=1
	v_mov_b32_e32 v3, s11
	v_subrev_co_u32_e32 v4, vcc, s10, v4
	v_subb_co_u32_e32 v3, vcc, v5, v3, vcc
	v_mul_lo_u32 v3, v3, s8
	v_mul_lo_u32 v6, v4, s9
	v_mad_u64_u32 v[4:5], s[2:3], v4, s8, 0
	v_add3_u32 v5, v5, v6, v3
	v_or_b32_e32 v3, s36, v5
	v_cmp_ne_u64_e32 vcc, 0, v[2:3]
                                        ; implicit-def: $vgpr6_vgpr7
	s_and_saveexec_b64 s[2:3], vcc
	s_xor_b64 s[26:27], exec, s[2:3]
	s_cbranch_execz .LBB27_14
; %bb.13:                               ;   in Loop: Header=BB27_4 Depth=1
	s_ashr_i32 s28, s36, 31
	s_add_u32 s2, s33, s28
	s_mov_b32 s29, s28
	s_addc_u32 s3, s36, s28
	s_xor_b64 s[30:31], s[2:3], s[28:29]
	v_cvt_f32_u32_e32 v3, s30
	v_cvt_f32_u32_e32 v6, s31
	s_sub_u32 s2, 0, s30
	s_subb_u32 s3, 0, s31
	v_mac_f32_e32 v3, 0x4f800000, v6
	v_rcp_f32_e32 v3, v3
	v_mul_f32_e32 v3, 0x5f7ffffc, v3
	v_mul_f32_e32 v6, 0x2f800000, v3
	v_trunc_f32_e32 v6, v6
	v_mac_f32_e32 v3, 0xcf800000, v6
	v_cvt_u32_f32_e32 v6, v6
	v_cvt_u32_f32_e32 v3, v3
	v_mul_lo_u32 v7, s2, v6
	v_mul_hi_u32 v9, s2, v3
	v_mul_lo_u32 v8, s3, v3
	v_add_u32_e32 v7, v9, v7
	v_mul_lo_u32 v11, s2, v3
	v_add_u32_e32 v7, v7, v8
	v_mul_lo_u32 v9, v3, v7
	v_mul_hi_u32 v12, v3, v11
	v_mul_hi_u32 v8, v3, v7
	v_add_co_u32_e32 v9, vcc, v12, v9
	v_addc_co_u32_e32 v8, vcc, 0, v8, vcc
	v_mul_hi_u32 v13, v6, v11
	v_mul_lo_u32 v11, v6, v11
	v_add_co_u32_e32 v9, vcc, v9, v11
	v_mul_hi_u32 v12, v6, v7
	v_addc_co_u32_e32 v8, vcc, v8, v13, vcc
	v_addc_co_u32_e32 v9, vcc, 0, v12, vcc
	v_mul_lo_u32 v7, v6, v7
	v_add_co_u32_e32 v7, vcc, v8, v7
	v_addc_co_u32_e32 v8, vcc, 0, v9, vcc
	v_add_co_u32_e32 v3, vcc, v3, v7
	v_addc_co_u32_e32 v6, vcc, v6, v8, vcc
	v_mul_lo_u32 v7, s2, v6
	v_mul_hi_u32 v8, s2, v3
	v_add_u32_e32 v7, v8, v7
	v_mul_lo_u32 v8, s3, v3
	v_add_u32_e32 v7, v7, v8
	v_mul_lo_u32 v9, s2, v3
	v_mul_hi_u32 v11, v6, v9
	v_mul_lo_u32 v12, v6, v9
	v_mul_lo_u32 v14, v3, v7
	v_mul_hi_u32 v9, v3, v9
	v_mul_hi_u32 v13, v3, v7
	v_add_co_u32_e32 v9, vcc, v9, v14
	v_addc_co_u32_e32 v13, vcc, 0, v13, vcc
	v_add_co_u32_e32 v9, vcc, v9, v12
	v_mul_hi_u32 v8, v6, v7
	v_addc_co_u32_e32 v9, vcc, v13, v11, vcc
	v_addc_co_u32_e32 v8, vcc, 0, v8, vcc
	v_mul_lo_u32 v7, v6, v7
	v_add_co_u32_e32 v7, vcc, v9, v7
	v_addc_co_u32_e32 v8, vcc, 0, v8, vcc
	v_add_co_u32_e32 v3, vcc, v3, v7
	v_addc_co_u32_e32 v6, vcc, v6, v8, vcc
	v_ashrrev_i32_e32 v8, 31, v5
	v_add_co_u32_e32 v4, vcc, v4, v8
	v_addc_co_u32_e32 v5, vcc, v5, v8, vcc
	v_xor_b32_e32 v11, v4, v8
	v_xor_b32_e32 v9, v5, v8
	v_mad_u64_u32 v[4:5], s[2:3], v11, v6, 0
	v_mul_hi_u32 v7, v11, v3
	v_add_co_u32_e32 v12, vcc, v7, v4
	v_addc_co_u32_e32 v13, vcc, 0, v5, vcc
	v_mad_u64_u32 v[4:5], s[2:3], v9, v6, 0
	v_mad_u64_u32 v[6:7], s[2:3], v9, v3, 0
	v_add_co_u32_e32 v3, vcc, v12, v6
	v_addc_co_u32_e32 v3, vcc, v13, v7, vcc
	v_addc_co_u32_e32 v5, vcc, 0, v5, vcc
	v_add_co_u32_e32 v3, vcc, v3, v4
	v_addc_co_u32_e32 v4, vcc, 0, v5, vcc
	v_mul_lo_u32 v6, s31, v3
	v_mul_lo_u32 v7, s30, v4
	v_mad_u64_u32 v[4:5], s[2:3], s30, v3, 0
	v_add3_u32 v5, v5, v7, v6
	v_sub_u32_e32 v6, v9, v5
	v_mov_b32_e32 v7, s31
	v_sub_co_u32_e32 v4, vcc, v11, v4
	v_subb_co_u32_e64 v6, s[2:3], v6, v7, vcc
	v_subrev_co_u32_e64 v7, s[2:3], s30, v4
	v_subbrev_co_u32_e64 v6, s[2:3], 0, v6, s[2:3]
	v_cmp_le_u32_e64 s[2:3], s31, v6
	v_subb_co_u32_e32 v5, vcc, v9, v5, vcc
	v_cndmask_b32_e64 v11, 0, -1, s[2:3]
	v_cmp_le_u32_e64 s[2:3], s30, v7
	v_cmp_le_u32_e32 vcc, s31, v5
	v_cndmask_b32_e64 v7, 0, -1, s[2:3]
	v_cmp_eq_u32_e64 s[2:3], s31, v6
	v_cndmask_b32_e64 v9, 0, -1, vcc
	v_cmp_le_u32_e32 vcc, s30, v4
	v_cndmask_b32_e64 v6, v11, v7, s[2:3]
	v_cndmask_b32_e64 v4, 0, -1, vcc
	v_cmp_eq_u32_e32 vcc, s31, v5
	v_add_co_u32_e64 v7, s[2:3], 2, v3
	v_add_co_u32_e64 v11, s[2:3], 1, v3
	v_cndmask_b32_e32 v4, v9, v4, vcc
	v_cmp_ne_u32_e32 vcc, 0, v6
	v_cndmask_b32_e32 v5, v11, v7, vcc
	v_cmp_ne_u32_e32 vcc, 0, v4
	v_cndmask_b32_e32 v3, v3, v5, vcc
	v_xor_b32_e32 v4, s28, v8
	v_xor_b32_e32 v3, v3, v4
	v_sub_co_u32_e32 v6, vcc, v3, v4
                                        ; implicit-def: $vgpr4_vgpr5
.LBB27_14:                              ;   in Loop: Header=BB27_4 Depth=1
	s_andn2_saveexec_b64 s[2:3], s[26:27]
	s_cbranch_execz .LBB27_2
; %bb.15:                               ;   in Loop: Header=BB27_4 Depth=1
	v_cvt_f32_u32_e32 v3, s33
	s_sub_i32 s26, 0, s33
	v_rcp_iflag_f32_e32 v3, v3
	v_mul_f32_e32 v3, 0x4f7ffffe, v3
	v_cvt_u32_f32_e32 v3, v3
	v_mul_lo_u32 v5, s26, v3
	v_mul_hi_u32 v5, v3, v5
	v_add_u32_e32 v3, v3, v5
	v_mul_hi_u32 v3, v4, v3
	v_mul_lo_u32 v5, v3, s33
	v_sub_u32_e32 v4, v4, v5
	v_add_u32_e32 v6, 1, v3
	v_subrev_u32_e32 v5, s33, v4
	v_cmp_le_u32_e32 vcc, s33, v4
	v_cndmask_b32_e32 v4, v4, v5, vcc
	v_cndmask_b32_e32 v3, v3, v6, vcc
	v_add_u32_e32 v5, 1, v3
	v_cmp_le_u32_e32 vcc, s33, v4
	v_cndmask_b32_e32 v6, v3, v5, vcc
	s_branch .LBB27_2
.LBB27_16:
	s_endpgm
	.section	.rodata,"a",@progbits
	.p2align	6, 0x0
	.amdhsa_kernel _ZN2at4cuda17kernelHistogram1DIfilLi1ELi2ELin1ELNS0_23CUDAHistogramMemoryTypeE1EZNS0_21CUDA_tensor_histogramIfiLb1EEEbNS_6TensorES4_S4_lNS_14AccumulateTypeIT0_Lb1EE4typeES8_NS0_13TensorArgTypeES9_S9_EUllE0_EEvNS0_6detail10TensorInfoIT_T1_EESF_NSC_IKS6_SE_EElS8_S8_SE_T6_
		.amdhsa_group_segment_fixed_size 0
		.amdhsa_private_segment_fixed_size 0
		.amdhsa_kernarg_size 1544
		.amdhsa_user_sgpr_count 6
		.amdhsa_user_sgpr_private_segment_buffer 1
		.amdhsa_user_sgpr_dispatch_ptr 0
		.amdhsa_user_sgpr_queue_ptr 0
		.amdhsa_user_sgpr_kernarg_segment_ptr 1
		.amdhsa_user_sgpr_dispatch_id 0
		.amdhsa_user_sgpr_flat_scratch_init 0
		.amdhsa_user_sgpr_kernarg_preload_length 0
		.amdhsa_user_sgpr_kernarg_preload_offset 0
		.amdhsa_user_sgpr_private_segment_size 0
		.amdhsa_uses_dynamic_stack 0
		.amdhsa_system_sgpr_private_segment_wavefront_offset 0
		.amdhsa_system_sgpr_workgroup_id_x 1
		.amdhsa_system_sgpr_workgroup_id_y 0
		.amdhsa_system_sgpr_workgroup_id_z 0
		.amdhsa_system_sgpr_workgroup_info 0
		.amdhsa_system_vgpr_workitem_id 0
		.amdhsa_next_free_vgpr 19
		.amdhsa_next_free_sgpr 41
		.amdhsa_accum_offset 20
		.amdhsa_reserve_vcc 1
		.amdhsa_reserve_flat_scratch 0
		.amdhsa_float_round_mode_32 0
		.amdhsa_float_round_mode_16_64 0
		.amdhsa_float_denorm_mode_32 3
		.amdhsa_float_denorm_mode_16_64 3
		.amdhsa_dx10_clamp 1
		.amdhsa_ieee_mode 1
		.amdhsa_fp16_overflow 0
		.amdhsa_tg_split 0
		.amdhsa_exception_fp_ieee_invalid_op 0
		.amdhsa_exception_fp_denorm_src 0
		.amdhsa_exception_fp_ieee_div_zero 0
		.amdhsa_exception_fp_ieee_overflow 0
		.amdhsa_exception_fp_ieee_underflow 0
		.amdhsa_exception_fp_ieee_inexact 0
		.amdhsa_exception_int_div_zero 0
	.end_amdhsa_kernel
	.section	.text._ZN2at4cuda17kernelHistogram1DIfilLi1ELi2ELin1ELNS0_23CUDAHistogramMemoryTypeE1EZNS0_21CUDA_tensor_histogramIfiLb1EEEbNS_6TensorES4_S4_lNS_14AccumulateTypeIT0_Lb1EE4typeES8_NS0_13TensorArgTypeES9_S9_EUllE0_EEvNS0_6detail10TensorInfoIT_T1_EESF_NSC_IKS6_SE_EElS8_S8_SE_T6_,"axG",@progbits,_ZN2at4cuda17kernelHistogram1DIfilLi1ELi2ELin1ELNS0_23CUDAHistogramMemoryTypeE1EZNS0_21CUDA_tensor_histogramIfiLb1EEEbNS_6TensorES4_S4_lNS_14AccumulateTypeIT0_Lb1EE4typeES8_NS0_13TensorArgTypeES9_S9_EUllE0_EEvNS0_6detail10TensorInfoIT_T1_EESF_NSC_IKS6_SE_EElS8_S8_SE_T6_,comdat
.Lfunc_end27:
	.size	_ZN2at4cuda17kernelHistogram1DIfilLi1ELi2ELin1ELNS0_23CUDAHistogramMemoryTypeE1EZNS0_21CUDA_tensor_histogramIfiLb1EEEbNS_6TensorES4_S4_lNS_14AccumulateTypeIT0_Lb1EE4typeES8_NS0_13TensorArgTypeES9_S9_EUllE0_EEvNS0_6detail10TensorInfoIT_T1_EESF_NSC_IKS6_SE_EElS8_S8_SE_T6_, .Lfunc_end27-_ZN2at4cuda17kernelHistogram1DIfilLi1ELi2ELin1ELNS0_23CUDAHistogramMemoryTypeE1EZNS0_21CUDA_tensor_histogramIfiLb1EEEbNS_6TensorES4_S4_lNS_14AccumulateTypeIT0_Lb1EE4typeES8_NS0_13TensorArgTypeES9_S9_EUllE0_EEvNS0_6detail10TensorInfoIT_T1_EESF_NSC_IKS6_SE_EElS8_S8_SE_T6_
                                        ; -- End function
	.section	.AMDGPU.csdata,"",@progbits
; Kernel info:
; codeLenInByte = 2216
; NumSgprs: 45
; NumVgprs: 19
; NumAgprs: 0
; TotalNumVgprs: 19
; ScratchSize: 0
; MemoryBound: 0
; FloatMode: 240
; IeeeMode: 1
; LDSByteSize: 0 bytes/workgroup (compile time only)
; SGPRBlocks: 5
; VGPRBlocks: 2
; NumSGPRsForWavesPerEU: 45
; NumVGPRsForWavesPerEU: 19
; AccumOffset: 20
; Occupancy: 8
; WaveLimiterHint : 1
; COMPUTE_PGM_RSRC2:SCRATCH_EN: 0
; COMPUTE_PGM_RSRC2:USER_SGPR: 6
; COMPUTE_PGM_RSRC2:TRAP_HANDLER: 0
; COMPUTE_PGM_RSRC2:TGID_X_EN: 1
; COMPUTE_PGM_RSRC2:TGID_Y_EN: 0
; COMPUTE_PGM_RSRC2:TGID_Z_EN: 0
; COMPUTE_PGM_RSRC2:TIDIG_COMP_CNT: 0
; COMPUTE_PGM_RSRC3_GFX90A:ACCUM_OFFSET: 4
; COMPUTE_PGM_RSRC3_GFX90A:TG_SPLIT: 0
	.section	.text._ZN2at4cuda17kernelHistogram1DIlilLi1ELi2ELin1ELNS0_23CUDAHistogramMemoryTypeE0EZNS0_21CUDA_tensor_histogramIliLb0EEEbNS_6TensorES4_S4_lNS_14AccumulateTypeIT0_Lb1EE4typeES8_NS0_13TensorArgTypeES9_S9_EUllE_EEvNS0_6detail10TensorInfoIT_T1_EESF_NSC_IKS6_SE_EElS8_S8_SE_T6_,"axG",@progbits,_ZN2at4cuda17kernelHistogram1DIlilLi1ELi2ELin1ELNS0_23CUDAHistogramMemoryTypeE0EZNS0_21CUDA_tensor_histogramIliLb0EEEbNS_6TensorES4_S4_lNS_14AccumulateTypeIT0_Lb1EE4typeES8_NS0_13TensorArgTypeES9_S9_EUllE_EEvNS0_6detail10TensorInfoIT_T1_EESF_NSC_IKS6_SE_EElS8_S8_SE_T6_,comdat
	.protected	_ZN2at4cuda17kernelHistogram1DIlilLi1ELi2ELin1ELNS0_23CUDAHistogramMemoryTypeE0EZNS0_21CUDA_tensor_histogramIliLb0EEEbNS_6TensorES4_S4_lNS_14AccumulateTypeIT0_Lb1EE4typeES8_NS0_13TensorArgTypeES9_S9_EUllE_EEvNS0_6detail10TensorInfoIT_T1_EESF_NSC_IKS6_SE_EElS8_S8_SE_T6_ ; -- Begin function _ZN2at4cuda17kernelHistogram1DIlilLi1ELi2ELin1ELNS0_23CUDAHistogramMemoryTypeE0EZNS0_21CUDA_tensor_histogramIliLb0EEEbNS_6TensorES4_S4_lNS_14AccumulateTypeIT0_Lb1EE4typeES8_NS0_13TensorArgTypeES9_S9_EUllE_EEvNS0_6detail10TensorInfoIT_T1_EESF_NSC_IKS6_SE_EElS8_S8_SE_T6_
	.globl	_ZN2at4cuda17kernelHistogram1DIlilLi1ELi2ELin1ELNS0_23CUDAHistogramMemoryTypeE0EZNS0_21CUDA_tensor_histogramIliLb0EEEbNS_6TensorES4_S4_lNS_14AccumulateTypeIT0_Lb1EE4typeES8_NS0_13TensorArgTypeES9_S9_EUllE_EEvNS0_6detail10TensorInfoIT_T1_EESF_NSC_IKS6_SE_EElS8_S8_SE_T6_
	.p2align	8
	.type	_ZN2at4cuda17kernelHistogram1DIlilLi1ELi2ELin1ELNS0_23CUDAHistogramMemoryTypeE0EZNS0_21CUDA_tensor_histogramIliLb0EEEbNS_6TensorES4_S4_lNS_14AccumulateTypeIT0_Lb1EE4typeES8_NS0_13TensorArgTypeES9_S9_EUllE_EEvNS0_6detail10TensorInfoIT_T1_EESF_NSC_IKS6_SE_EElS8_S8_SE_T6_,@function
_ZN2at4cuda17kernelHistogram1DIlilLi1ELi2ELin1ELNS0_23CUDAHistogramMemoryTypeE0EZNS0_21CUDA_tensor_histogramIliLb0EEEbNS_6TensorES4_S4_lNS_14AccumulateTypeIT0_Lb1EE4typeES8_NS0_13TensorArgTypeES9_S9_EUllE_EEvNS0_6detail10TensorInfoIT_T1_EESF_NSC_IKS6_SE_EElS8_S8_SE_T6_: ; @_ZN2at4cuda17kernelHistogram1DIlilLi1ELi2ELin1ELNS0_23CUDAHistogramMemoryTypeE0EZNS0_21CUDA_tensor_histogramIliLb0EEEbNS_6TensorES4_S4_lNS_14AccumulateTypeIT0_Lb1EE4typeES8_NS0_13TensorArgTypeES9_S9_EUllE_EEvNS0_6detail10TensorInfoIT_T1_EESF_NSC_IKS6_SE_EElS8_S8_SE_T6_
; %bb.0:
	s_load_dwordx4 s[16:19], s[4:5], 0x0
	s_load_dwordx2 s[20:21], s[4:5], 0x500
	s_load_dwordx8 s[8:15], s[4:5], 0x4e0
	v_mov_b32_e32 v1, 0
	s_add_u32 s2, s4, 0x6a0
	s_waitcnt lgkmcnt(0)
	v_cmp_gt_i64_e64 s[0:1], s[18:19], v[0:1]
	v_cmp_le_i64_e32 vcc, s[18:19], v[0:1]
	s_addc_u32 s3, s5, 0
                                        ; implicit-def: $sgpr7
                                        ; implicit-def: $sgpr28
	s_and_saveexec_b64 s[22:23], vcc
	s_xor_b64 s[22:23], exec, s[22:23]
	s_cbranch_execz .LBB28_2
; %bb.1:
	s_load_dword s7, s[2:3], 0xc
	s_waitcnt lgkmcnt(0)
	s_and_b32 s28, s7, 0xffff
.LBB28_2:
	s_or_saveexec_b64 s[26:27], s[22:23]
	s_load_dwordx2 s[22:23], s[4:5], 0xd0
	s_load_dwordx2 s[24:25], s[4:5], 0x5d0
	v_mov_b32_e32 v7, s7
	v_mov_b32_e32 v15, s28
	v_lshl_add_u32 v14, v0, 3, 0
	s_xor_b64 exec, exec, s[26:27]
	s_cbranch_execz .LBB28_6
; %bb.3:
	s_load_dword s7, s[2:3], 0xc
	s_mov_b32 s33, 0
	v_mov_b32_e32 v2, 0
	v_lshl_add_u32 v6, v0, 3, 0
	s_mov_b64 s[28:29], 0
	s_waitcnt lgkmcnt(0)
	s_and_b32 s30, s7, 0xffff
	s_lshl_b32 s31, s30, 3
	v_mov_b32_e32 v3, v2
	v_mov_b32_e32 v7, s33
	v_pk_mov_b32 v[4:5], v[0:1], v[0:1] op_sel:[0,1]
.LBB28_4:                               ; =>This Inner Loop Header: Depth=1
	v_add_co_u32_e32 v4, vcc, s30, v4
	v_addc_co_u32_e32 v5, vcc, v5, v7, vcc
	v_cmp_le_i64_e32 vcc, s[18:19], v[4:5]
	ds_write_b64 v6, v[2:3]
	s_or_b64 s[28:29], vcc, s[28:29]
	v_add_u32_e32 v6, s31, v6
	s_andn2_b64 exec, exec, s[28:29]
	s_cbranch_execnz .LBB28_4
; %bb.5:
	s_or_b64 exec, exec, s[28:29]
	v_mov_b32_e32 v7, s7
	v_mov_b32_e32 v15, s30
.LBB28_6:
	s_or_b64 exec, exec, s[26:27]
	v_mad_u64_u32 v[2:3], s[6:7], s6, v15, v[0:1]
	v_mov_b32_e32 v4, 0
	v_mov_b32_e32 v3, v4
	v_cmp_gt_i64_e32 vcc, s[14:15], v[2:3]
	s_waitcnt lgkmcnt(0)
	s_barrier
	s_and_saveexec_b64 s[6:7], vcc
	s_cbranch_execz .LBB28_22
; %bb.7:
	s_load_dword s30, s[4:5], 0x4d8
	s_load_dwordx2 s[26:27], s[4:5], 0x410
	s_load_dwordx2 s[28:29], s[4:5], 0x340
	s_add_u32 s31, s4, 0x340
	s_addc_u32 s35, s5, 0
	s_waitcnt lgkmcnt(0)
	s_cmp_gt_i32 s30, 1
	s_load_dword s34, s[2:3], 0x0
	s_cselect_b64 s[2:3], -1, 0
	s_sub_u32 s33, s12, s10
	s_subb_u32 s46, s13, s11
	s_mov_b32 s5, 0
	s_add_i32 s4, s30, -1
	s_add_i32 s47, s30, 1
	s_lshl_b64 s[4:5], s[4:5], 3
	s_add_u32 s4, s4, s31
	s_addc_u32 s5, s5, s35
	s_add_u32 s30, s4, 8
	v_cndmask_b32_e64 v5, 0, 1, s[2:3]
	s_waitcnt lgkmcnt(0)
	v_mul_lo_u32 v6, s34, v15
	s_addc_u32 s31, s5, 0
	s_mov_b64 s[34:35], 0
	v_cmp_ne_u32_e64 s[2:3], 1, v5
	s_branch .LBB28_10
.LBB28_8:                               ;   in Loop: Header=BB28_10 Depth=1
	s_or_b64 exec, exec, s[4:5]
	v_mul_lo_u32 v5, v3, s24
	v_mul_lo_u32 v11, v2, s25
	v_mad_u64_u32 v[8:9], s[4:5], v2, s24, 0
	v_add3_u32 v9, v9, v11, v5
	v_lshlrev_b64 v[8:9], 3, v[8:9]
	v_mov_b32_e32 v5, s21
	v_add_co_u32_e32 v8, vcc, s20, v8
	v_addc_co_u32_e32 v9, vcc, v5, v9, vcc
	global_load_dwordx2 v[8:9], v[8:9], off
	v_ashrrev_i32_e32 v11, 31, v10
	v_cmp_eq_u64_e32 vcc, s[8:9], v[10:11]
	v_subbrev_co_u32_e32 v5, vcc, 0, v10, vcc
	v_lshl_add_u32 v5, v5, 3, 0
	s_waitcnt vmcnt(0)
	ds_add_u64 v5, v[8:9]
.LBB28_9:                               ;   in Loop: Header=BB28_10 Depth=1
	s_or_b64 exec, exec, s[36:37]
	v_add_co_u32_e32 v2, vcc, v2, v6
	v_addc_co_u32_e32 v3, vcc, 0, v3, vcc
	v_cmp_le_i64_e32 vcc, s[14:15], v[2:3]
	s_or_b64 s[34:35], vcc, s[34:35]
	s_andn2_b64 exec, exec, s[34:35]
	s_cbranch_execz .LBB28_22
.LBB28_10:                              ; =>This Loop Header: Depth=1
                                        ;     Child Loop BB28_11 Depth 2
	s_and_b64 vcc, exec, s[2:3]
	v_pk_mov_b32 v[8:9], 0, 0
	s_mov_b64 s[36:37], s[30:31]
	s_mov_b32 s48, s47
	v_pk_mov_b32 v[10:11], v[2:3], v[2:3] op_sel:[0,1]
	v_pk_mov_b32 v[12:13], v[2:3], v[2:3] op_sel:[0,1]
	s_cbranch_vccnz .LBB28_17
.LBB28_11:                              ;   Parent Loop BB28_10 Depth=1
                                        ; =>  This Inner Loop Header: Depth=2
	s_load_dwordx2 s[38:39], s[36:37], 0x0
                                        ; implicit-def: $vgpr12_vgpr13
	s_waitcnt lgkmcnt(0)
	v_or_b32_e32 v5, s39, v11
	v_cmp_ne_u64_e32 vcc, 0, v[4:5]
	s_and_saveexec_b64 s[4:5], vcc
	s_xor_b64 s[40:41], exec, s[4:5]
	s_cbranch_execz .LBB28_13
; %bb.12:                               ;   in Loop: Header=BB28_11 Depth=2
	s_ashr_i32 s42, s39, 31
	s_add_u32 s4, s38, s42
	s_mov_b32 s43, s42
	s_addc_u32 s5, s39, s42
	s_xor_b64 s[44:45], s[4:5], s[42:43]
	v_cvt_f32_u32_e32 v5, s44
	v_cvt_f32_u32_e32 v12, s45
	s_sub_u32 s4, 0, s44
	s_subb_u32 s5, 0, s45
	v_mac_f32_e32 v5, 0x4f800000, v12
	v_rcp_f32_e32 v5, v5
	v_mul_f32_e32 v5, 0x5f7ffffc, v5
	v_mul_f32_e32 v12, 0x2f800000, v5
	v_trunc_f32_e32 v12, v12
	v_mac_f32_e32 v5, 0xcf800000, v12
	v_cvt_u32_f32_e32 v12, v12
	v_cvt_u32_f32_e32 v5, v5
	v_mul_lo_u32 v13, s4, v12
	v_mul_hi_u32 v17, s4, v5
	v_mul_lo_u32 v16, s5, v5
	v_add_u32_e32 v13, v17, v13
	v_mul_lo_u32 v18, s4, v5
	v_add_u32_e32 v13, v13, v16
	v_mul_lo_u32 v17, v5, v13
	v_mul_hi_u32 v19, v5, v18
	v_mul_hi_u32 v16, v5, v13
	v_add_co_u32_e32 v17, vcc, v19, v17
	v_addc_co_u32_e32 v16, vcc, 0, v16, vcc
	v_mul_hi_u32 v20, v12, v18
	v_mul_lo_u32 v18, v12, v18
	v_add_co_u32_e32 v17, vcc, v17, v18
	v_mul_hi_u32 v19, v12, v13
	v_addc_co_u32_e32 v16, vcc, v16, v20, vcc
	v_addc_co_u32_e32 v17, vcc, 0, v19, vcc
	v_mul_lo_u32 v13, v12, v13
	v_add_co_u32_e32 v13, vcc, v16, v13
	v_addc_co_u32_e32 v16, vcc, 0, v17, vcc
	v_add_co_u32_e32 v5, vcc, v5, v13
	v_addc_co_u32_e32 v12, vcc, v12, v16, vcc
	v_mul_lo_u32 v13, s4, v12
	v_mul_hi_u32 v16, s4, v5
	v_add_u32_e32 v13, v16, v13
	v_mul_lo_u32 v16, s5, v5
	v_add_u32_e32 v13, v13, v16
	v_mul_lo_u32 v17, s4, v5
	v_mul_hi_u32 v18, v12, v17
	v_mul_lo_u32 v19, v12, v17
	v_mul_lo_u32 v21, v5, v13
	v_mul_hi_u32 v17, v5, v17
	v_mul_hi_u32 v20, v5, v13
	v_add_co_u32_e32 v17, vcc, v17, v21
	v_addc_co_u32_e32 v20, vcc, 0, v20, vcc
	v_add_co_u32_e32 v17, vcc, v17, v19
	v_mul_hi_u32 v16, v12, v13
	v_addc_co_u32_e32 v17, vcc, v20, v18, vcc
	v_addc_co_u32_e32 v16, vcc, 0, v16, vcc
	v_mul_lo_u32 v13, v12, v13
	v_add_co_u32_e32 v13, vcc, v17, v13
	v_addc_co_u32_e32 v16, vcc, 0, v16, vcc
	v_add_co_u32_e32 v5, vcc, v5, v13
	v_addc_co_u32_e32 v16, vcc, v12, v16, vcc
	v_ashrrev_i32_e32 v18, 31, v11
	v_add_co_u32_e32 v12, vcc, v10, v18
	v_addc_co_u32_e32 v13, vcc, v11, v18, vcc
	v_xor_b32_e32 v20, v12, v18
	v_xor_b32_e32 v19, v13, v18
	v_mad_u64_u32 v[12:13], s[4:5], v20, v16, 0
	v_mul_hi_u32 v17, v20, v5
	v_add_co_u32_e32 v21, vcc, v17, v12
	v_addc_co_u32_e32 v22, vcc, 0, v13, vcc
	v_mad_u64_u32 v[12:13], s[4:5], v19, v16, 0
	v_mad_u64_u32 v[16:17], s[4:5], v19, v5, 0
	v_add_co_u32_e32 v5, vcc, v21, v16
	v_addc_co_u32_e32 v5, vcc, v22, v17, vcc
	v_addc_co_u32_e32 v13, vcc, 0, v13, vcc
	v_add_co_u32_e32 v5, vcc, v5, v12
	v_addc_co_u32_e32 v16, vcc, 0, v13, vcc
	v_mul_lo_u32 v17, s45, v5
	v_mul_lo_u32 v21, s44, v16
	v_mad_u64_u32 v[12:13], s[4:5], s44, v5, 0
	v_add3_u32 v13, v13, v21, v17
	v_sub_u32_e32 v17, v19, v13
	v_mov_b32_e32 v21, s45
	v_sub_co_u32_e32 v12, vcc, v20, v12
	v_subb_co_u32_e64 v17, s[4:5], v17, v21, vcc
	v_subrev_co_u32_e64 v20, s[4:5], s44, v12
	v_subbrev_co_u32_e64 v17, s[4:5], 0, v17, s[4:5]
	v_cmp_le_u32_e64 s[4:5], s45, v17
	v_cndmask_b32_e64 v21, 0, -1, s[4:5]
	v_cmp_le_u32_e64 s[4:5], s44, v20
	v_cndmask_b32_e64 v20, 0, -1, s[4:5]
	v_cmp_eq_u32_e64 s[4:5], s45, v17
	v_cndmask_b32_e64 v17, v21, v20, s[4:5]
	v_add_co_u32_e64 v20, s[4:5], 2, v5
	v_subb_co_u32_e32 v13, vcc, v19, v13, vcc
	v_addc_co_u32_e64 v21, s[4:5], 0, v16, s[4:5]
	v_cmp_le_u32_e32 vcc, s45, v13
	v_add_co_u32_e64 v22, s[4:5], 1, v5
	v_cndmask_b32_e64 v19, 0, -1, vcc
	v_cmp_le_u32_e32 vcc, s44, v12
	v_addc_co_u32_e64 v23, s[4:5], 0, v16, s[4:5]
	v_cndmask_b32_e64 v12, 0, -1, vcc
	v_cmp_eq_u32_e32 vcc, s45, v13
	v_cmp_ne_u32_e64 s[4:5], 0, v17
	v_cndmask_b32_e32 v12, v19, v12, vcc
	v_cmp_ne_u32_e32 vcc, 0, v12
	v_cndmask_b32_e64 v13, v22, v20, s[4:5]
	v_cndmask_b32_e64 v17, v23, v21, s[4:5]
	v_cndmask_b32_e32 v5, v5, v13, vcc
	v_xor_b32_e32 v13, s42, v18
	v_cndmask_b32_e32 v12, v16, v17, vcc
	v_xor_b32_e32 v5, v5, v13
	v_xor_b32_e32 v16, v12, v13
	v_sub_co_u32_e32 v12, vcc, v5, v13
	v_subb_co_u32_e32 v13, vcc, v16, v13, vcc
.LBB28_13:                              ;   in Loop: Header=BB28_11 Depth=2
	s_andn2_saveexec_b64 s[4:5], s[40:41]
	s_cbranch_execz .LBB28_15
; %bb.14:                               ;   in Loop: Header=BB28_11 Depth=2
	v_cvt_f32_u32_e32 v5, s38
	s_sub_i32 s40, 0, s38
	v_rcp_iflag_f32_e32 v5, v5
	v_mul_f32_e32 v5, 0x4f7ffffe, v5
	v_cvt_u32_f32_e32 v5, v5
	v_mul_lo_u32 v12, s40, v5
	v_mul_hi_u32 v12, v5, v12
	v_add_u32_e32 v5, v5, v12
	v_mul_hi_u32 v5, v10, v5
	v_mul_lo_u32 v12, v5, s38
	v_sub_u32_e32 v12, v10, v12
	v_add_u32_e32 v13, 1, v5
	v_subrev_u32_e32 v16, s38, v12
	v_cmp_le_u32_e32 vcc, s38, v12
	v_cndmask_b32_e32 v12, v12, v16, vcc
	v_cndmask_b32_e32 v5, v5, v13, vcc
	v_add_u32_e32 v13, 1, v5
	v_cmp_le_u32_e32 vcc, s38, v12
	v_cndmask_b32_e32 v12, v5, v13, vcc
	v_mov_b32_e32 v13, v4
.LBB28_15:                              ;   in Loop: Header=BB28_11 Depth=2
	s_or_b64 exec, exec, s[4:5]
	v_mad_u64_u32 v[16:17], s[4:5], v12, s38, 0
	s_load_dwordx2 s[4:5], s[36:37], 0xc8
	v_mul_lo_u32 v5, v13, s38
	v_mul_lo_u32 v18, v12, s39
	v_add3_u32 v5, v17, v18, v5
	v_sub_co_u32_e32 v10, vcc, v10, v16
	s_add_i32 s48, s48, -1
	v_subb_co_u32_e32 v5, vcc, v11, v5, vcc
	s_add_u32 s36, s36, -8
	s_waitcnt lgkmcnt(0)
	v_mul_lo_u32 v5, s4, v5
	v_mul_lo_u32 v11, s5, v10
	v_mad_u64_u32 v[8:9], s[4:5], s4, v10, v[8:9]
	s_addc_u32 s37, s37, -1
	s_cmp_gt_u32 s48, 2
	v_add3_u32 v9, v11, v9, v5
	s_cbranch_scc0 .LBB28_17
; %bb.16:                               ;   in Loop: Header=BB28_11 Depth=2
	v_pk_mov_b32 v[10:11], v[12:13], v[12:13] op_sel:[0,1]
	s_branch .LBB28_11
.LBB28_17:                              ;   in Loop: Header=BB28_10 Depth=1
	v_mul_lo_u32 v5, s27, v12
	v_mul_lo_u32 v13, s26, v13
	v_mad_u64_u32 v[10:11], s[4:5], s26, v12, 0
	v_add3_u32 v11, v11, v13, v5
	v_lshlrev_b64 v[10:11], 2, v[10:11]
	v_mov_b32_e32 v5, s29
	v_add_co_u32_e32 v10, vcc, s28, v10
	v_addc_co_u32_e32 v5, vcc, v5, v11, vcc
	v_lshlrev_b64 v[8:9], 2, v[8:9]
	v_add_co_u32_e32 v8, vcc, v10, v8
	v_addc_co_u32_e32 v9, vcc, v5, v9, vcc
	global_load_dword v8, v[8:9], off
	s_waitcnt vmcnt(0)
	v_ashrrev_i32_e32 v9, 31, v8
	v_cmp_le_i64_e32 vcc, s[10:11], v[8:9]
	v_cmp_ge_i64_e64 s[4:5], s[12:13], v[8:9]
	s_and_b64 s[4:5], vcc, s[4:5]
	s_and_saveexec_b64 s[36:37], s[4:5]
	s_cbranch_execz .LBB28_9
; %bb.18:                               ;   in Loop: Header=BB28_10 Depth=1
	v_mov_b32_e32 v5, s11
	v_subrev_co_u32_e32 v8, vcc, s10, v8
	v_subb_co_u32_e32 v5, vcc, v9, v5, vcc
	v_mul_lo_u32 v5, v5, s8
	v_mul_lo_u32 v10, v8, s9
	v_mad_u64_u32 v[8:9], s[4:5], v8, s8, 0
	v_add3_u32 v9, v9, v10, v5
	v_or_b32_e32 v5, s46, v9
	v_cmp_ne_u64_e32 vcc, 0, v[4:5]
                                        ; implicit-def: $vgpr10_vgpr11
	s_and_saveexec_b64 s[4:5], vcc
	s_xor_b64 s[38:39], exec, s[4:5]
	s_cbranch_execz .LBB28_20
; %bb.19:                               ;   in Loop: Header=BB28_10 Depth=1
	s_ashr_i32 s40, s46, 31
	s_add_u32 s4, s33, s40
	s_mov_b32 s41, s40
	s_addc_u32 s5, s46, s40
	s_xor_b64 s[42:43], s[4:5], s[40:41]
	v_cvt_f32_u32_e32 v5, s42
	v_cvt_f32_u32_e32 v10, s43
	s_sub_u32 s4, 0, s42
	s_subb_u32 s5, 0, s43
	v_mac_f32_e32 v5, 0x4f800000, v10
	v_rcp_f32_e32 v5, v5
	v_mul_f32_e32 v5, 0x5f7ffffc, v5
	v_mul_f32_e32 v10, 0x2f800000, v5
	v_trunc_f32_e32 v10, v10
	v_mac_f32_e32 v5, 0xcf800000, v10
	v_cvt_u32_f32_e32 v10, v10
	v_cvt_u32_f32_e32 v5, v5
	v_mul_lo_u32 v11, s4, v10
	v_mul_hi_u32 v13, s4, v5
	v_mul_lo_u32 v12, s5, v5
	v_add_u32_e32 v11, v13, v11
	v_mul_lo_u32 v16, s4, v5
	v_add_u32_e32 v11, v11, v12
	v_mul_lo_u32 v13, v5, v11
	v_mul_hi_u32 v17, v5, v16
	v_mul_hi_u32 v12, v5, v11
	v_add_co_u32_e32 v13, vcc, v17, v13
	v_addc_co_u32_e32 v12, vcc, 0, v12, vcc
	v_mul_hi_u32 v18, v10, v16
	v_mul_lo_u32 v16, v10, v16
	v_add_co_u32_e32 v13, vcc, v13, v16
	v_mul_hi_u32 v17, v10, v11
	v_addc_co_u32_e32 v12, vcc, v12, v18, vcc
	v_addc_co_u32_e32 v13, vcc, 0, v17, vcc
	v_mul_lo_u32 v11, v10, v11
	v_add_co_u32_e32 v11, vcc, v12, v11
	v_addc_co_u32_e32 v12, vcc, 0, v13, vcc
	v_add_co_u32_e32 v5, vcc, v5, v11
	v_addc_co_u32_e32 v10, vcc, v10, v12, vcc
	v_mul_lo_u32 v11, s4, v10
	v_mul_hi_u32 v12, s4, v5
	v_add_u32_e32 v11, v12, v11
	v_mul_lo_u32 v12, s5, v5
	v_add_u32_e32 v11, v11, v12
	v_mul_lo_u32 v13, s4, v5
	v_mul_hi_u32 v16, v10, v13
	v_mul_lo_u32 v17, v10, v13
	v_mul_lo_u32 v19, v5, v11
	v_mul_hi_u32 v13, v5, v13
	v_mul_hi_u32 v18, v5, v11
	v_add_co_u32_e32 v13, vcc, v13, v19
	v_addc_co_u32_e32 v18, vcc, 0, v18, vcc
	v_add_co_u32_e32 v13, vcc, v13, v17
	v_mul_hi_u32 v12, v10, v11
	v_addc_co_u32_e32 v13, vcc, v18, v16, vcc
	v_addc_co_u32_e32 v12, vcc, 0, v12, vcc
	v_mul_lo_u32 v11, v10, v11
	v_add_co_u32_e32 v11, vcc, v13, v11
	v_addc_co_u32_e32 v12, vcc, 0, v12, vcc
	v_add_co_u32_e32 v5, vcc, v5, v11
	v_addc_co_u32_e32 v10, vcc, v10, v12, vcc
	v_ashrrev_i32_e32 v12, 31, v9
	v_add_co_u32_e32 v8, vcc, v8, v12
	v_addc_co_u32_e32 v9, vcc, v9, v12, vcc
	v_xor_b32_e32 v16, v8, v12
	v_xor_b32_e32 v13, v9, v12
	v_mad_u64_u32 v[8:9], s[4:5], v16, v10, 0
	v_mul_hi_u32 v11, v16, v5
	v_add_co_u32_e32 v17, vcc, v11, v8
	v_addc_co_u32_e32 v18, vcc, 0, v9, vcc
	v_mad_u64_u32 v[8:9], s[4:5], v13, v10, 0
	v_mad_u64_u32 v[10:11], s[4:5], v13, v5, 0
	v_add_co_u32_e32 v5, vcc, v17, v10
	v_addc_co_u32_e32 v5, vcc, v18, v11, vcc
	v_addc_co_u32_e32 v9, vcc, 0, v9, vcc
	v_add_co_u32_e32 v5, vcc, v5, v8
	v_addc_co_u32_e32 v8, vcc, 0, v9, vcc
	v_mul_lo_u32 v10, s43, v5
	v_mul_lo_u32 v11, s42, v8
	v_mad_u64_u32 v[8:9], s[4:5], s42, v5, 0
	v_add3_u32 v9, v9, v11, v10
	v_sub_u32_e32 v10, v13, v9
	v_mov_b32_e32 v11, s43
	v_sub_co_u32_e32 v8, vcc, v16, v8
	v_subb_co_u32_e64 v10, s[4:5], v10, v11, vcc
	v_subrev_co_u32_e64 v11, s[4:5], s42, v8
	v_subbrev_co_u32_e64 v10, s[4:5], 0, v10, s[4:5]
	v_cmp_le_u32_e64 s[4:5], s43, v10
	v_subb_co_u32_e32 v9, vcc, v13, v9, vcc
	v_cndmask_b32_e64 v16, 0, -1, s[4:5]
	v_cmp_le_u32_e64 s[4:5], s42, v11
	v_cmp_le_u32_e32 vcc, s43, v9
	v_cndmask_b32_e64 v11, 0, -1, s[4:5]
	v_cmp_eq_u32_e64 s[4:5], s43, v10
	v_cndmask_b32_e64 v13, 0, -1, vcc
	v_cmp_le_u32_e32 vcc, s42, v8
	v_cndmask_b32_e64 v10, v16, v11, s[4:5]
	v_cndmask_b32_e64 v8, 0, -1, vcc
	v_cmp_eq_u32_e32 vcc, s43, v9
	v_add_co_u32_e64 v11, s[4:5], 2, v5
	v_add_co_u32_e64 v16, s[4:5], 1, v5
	v_cndmask_b32_e32 v8, v13, v8, vcc
	v_cmp_ne_u32_e32 vcc, 0, v10
	v_cndmask_b32_e32 v9, v16, v11, vcc
	v_cmp_ne_u32_e32 vcc, 0, v8
	v_cndmask_b32_e32 v5, v5, v9, vcc
	v_xor_b32_e32 v8, s40, v12
	v_xor_b32_e32 v5, v5, v8
	v_sub_co_u32_e32 v10, vcc, v5, v8
                                        ; implicit-def: $vgpr8_vgpr9
.LBB28_20:                              ;   in Loop: Header=BB28_10 Depth=1
	s_andn2_saveexec_b64 s[4:5], s[38:39]
	s_cbranch_execz .LBB28_8
; %bb.21:                               ;   in Loop: Header=BB28_10 Depth=1
	v_cvt_f32_u32_e32 v5, s33
	s_sub_i32 s38, 0, s33
	v_rcp_iflag_f32_e32 v5, v5
	v_mul_f32_e32 v5, 0x4f7ffffe, v5
	v_cvt_u32_f32_e32 v5, v5
	v_mul_lo_u32 v9, s38, v5
	v_mul_hi_u32 v9, v5, v9
	v_add_u32_e32 v5, v5, v9
	v_mul_hi_u32 v5, v8, v5
	v_mul_lo_u32 v9, v5, s33
	v_sub_u32_e32 v8, v8, v9
	v_add_u32_e32 v10, 1, v5
	v_subrev_u32_e32 v9, s33, v8
	v_cmp_le_u32_e32 vcc, s33, v8
	v_cndmask_b32_e32 v8, v8, v9, vcc
	v_cndmask_b32_e32 v5, v5, v10, vcc
	v_add_u32_e32 v9, 1, v5
	v_cmp_le_u32_e32 vcc, s33, v8
	v_cndmask_b32_e32 v10, v5, v9, vcc
	s_branch .LBB28_8
.LBB28_22:
	s_or_b64 exec, exec, s[6:7]
; %bb.23:
	s_waitcnt lgkmcnt(0)
	s_barrier
	s_and_saveexec_b64 s[2:3], s[0:1]
	s_cbranch_execz .LBB28_26
; %bb.24:
	v_mad_u64_u32 v[4:5], s[0:1], s22, v0, 0
	v_mov_b32_e32 v6, v5
	v_and_b32_e32 v2, 0xffff, v7
	v_mad_u64_u32 v[6:7], s[0:1], s23, v0, v[6:7]
	v_mov_b32_e32 v5, v6
	v_mad_u64_u32 v[6:7], s[0:1], s22, v2, 0
	v_mov_b32_e32 v8, v7
	v_lshlrev_b64 v[4:5], 3, v[4:5]
	v_mad_u64_u32 v[8:9], s[0:1], s23, v2, v[8:9]
	v_mov_b32_e32 v3, s17
	v_add_co_u32_e32 v4, vcc, s16, v4
	v_mov_b32_e32 v7, v8
	v_addc_co_u32_e32 v5, vcc, v3, v5, vcc
	v_lshlrev_b64 v[6:7], 3, v[6:7]
	v_lshlrev_b32_e32 v3, 3, v15
	s_mov_b64 s[0:1], 0
.LBB28_25:                              ; =>This Inner Loop Header: Depth=1
	ds_read_b64 v[8:9], v14
	v_add_co_u32_e32 v0, vcc, v0, v2
	v_addc_co_u32_e32 v1, vcc, 0, v1, vcc
	s_waitcnt lgkmcnt(0)
	global_atomic_add_x2 v[4:5], v[8:9], off
	v_cmp_le_i64_e32 vcc, s[18:19], v[0:1]
	s_or_b64 s[0:1], vcc, s[0:1]
	v_add_co_u32_e32 v4, vcc, v4, v6
	v_add_u32_e32 v14, v14, v3
	v_addc_co_u32_e32 v5, vcc, v5, v7, vcc
	s_andn2_b64 exec, exec, s[0:1]
	s_cbranch_execnz .LBB28_25
.LBB28_26:
	s_endpgm
	.section	.rodata,"a",@progbits
	.p2align	6, 0x0
	.amdhsa_kernel _ZN2at4cuda17kernelHistogram1DIlilLi1ELi2ELin1ELNS0_23CUDAHistogramMemoryTypeE0EZNS0_21CUDA_tensor_histogramIliLb0EEEbNS_6TensorES4_S4_lNS_14AccumulateTypeIT0_Lb1EE4typeES8_NS0_13TensorArgTypeES9_S9_EUllE_EEvNS0_6detail10TensorInfoIT_T1_EESF_NSC_IKS6_SE_EElS8_S8_SE_T6_
		.amdhsa_group_segment_fixed_size 0
		.amdhsa_private_segment_fixed_size 0
		.amdhsa_kernarg_size 1952
		.amdhsa_user_sgpr_count 6
		.amdhsa_user_sgpr_private_segment_buffer 1
		.amdhsa_user_sgpr_dispatch_ptr 0
		.amdhsa_user_sgpr_queue_ptr 0
		.amdhsa_user_sgpr_kernarg_segment_ptr 1
		.amdhsa_user_sgpr_dispatch_id 0
		.amdhsa_user_sgpr_flat_scratch_init 0
		.amdhsa_user_sgpr_kernarg_preload_length 0
		.amdhsa_user_sgpr_kernarg_preload_offset 0
		.amdhsa_user_sgpr_private_segment_size 0
		.amdhsa_uses_dynamic_stack 0
		.amdhsa_system_sgpr_private_segment_wavefront_offset 0
		.amdhsa_system_sgpr_workgroup_id_x 1
		.amdhsa_system_sgpr_workgroup_id_y 0
		.amdhsa_system_sgpr_workgroup_id_z 0
		.amdhsa_system_sgpr_workgroup_info 0
		.amdhsa_system_vgpr_workitem_id 0
		.amdhsa_next_free_vgpr 24
		.amdhsa_next_free_sgpr 49
		.amdhsa_accum_offset 24
		.amdhsa_reserve_vcc 1
		.amdhsa_reserve_flat_scratch 0
		.amdhsa_float_round_mode_32 0
		.amdhsa_float_round_mode_16_64 0
		.amdhsa_float_denorm_mode_32 3
		.amdhsa_float_denorm_mode_16_64 3
		.amdhsa_dx10_clamp 1
		.amdhsa_ieee_mode 1
		.amdhsa_fp16_overflow 0
		.amdhsa_tg_split 0
		.amdhsa_exception_fp_ieee_invalid_op 0
		.amdhsa_exception_fp_denorm_src 0
		.amdhsa_exception_fp_ieee_div_zero 0
		.amdhsa_exception_fp_ieee_overflow 0
		.amdhsa_exception_fp_ieee_underflow 0
		.amdhsa_exception_fp_ieee_inexact 0
		.amdhsa_exception_int_div_zero 0
	.end_amdhsa_kernel
	.section	.text._ZN2at4cuda17kernelHistogram1DIlilLi1ELi2ELin1ELNS0_23CUDAHistogramMemoryTypeE0EZNS0_21CUDA_tensor_histogramIliLb0EEEbNS_6TensorES4_S4_lNS_14AccumulateTypeIT0_Lb1EE4typeES8_NS0_13TensorArgTypeES9_S9_EUllE_EEvNS0_6detail10TensorInfoIT_T1_EESF_NSC_IKS6_SE_EElS8_S8_SE_T6_,"axG",@progbits,_ZN2at4cuda17kernelHistogram1DIlilLi1ELi2ELin1ELNS0_23CUDAHistogramMemoryTypeE0EZNS0_21CUDA_tensor_histogramIliLb0EEEbNS_6TensorES4_S4_lNS_14AccumulateTypeIT0_Lb1EE4typeES8_NS0_13TensorArgTypeES9_S9_EUllE_EEvNS0_6detail10TensorInfoIT_T1_EESF_NSC_IKS6_SE_EElS8_S8_SE_T6_,comdat
.Lfunc_end28:
	.size	_ZN2at4cuda17kernelHistogram1DIlilLi1ELi2ELin1ELNS0_23CUDAHistogramMemoryTypeE0EZNS0_21CUDA_tensor_histogramIliLb0EEEbNS_6TensorES4_S4_lNS_14AccumulateTypeIT0_Lb1EE4typeES8_NS0_13TensorArgTypeES9_S9_EUllE_EEvNS0_6detail10TensorInfoIT_T1_EESF_NSC_IKS6_SE_EElS8_S8_SE_T6_, .Lfunc_end28-_ZN2at4cuda17kernelHistogram1DIlilLi1ELi2ELin1ELNS0_23CUDAHistogramMemoryTypeE0EZNS0_21CUDA_tensor_histogramIliLb0EEEbNS_6TensorES4_S4_lNS_14AccumulateTypeIT0_Lb1EE4typeES8_NS0_13TensorArgTypeES9_S9_EUllE_EEvNS0_6detail10TensorInfoIT_T1_EESF_NSC_IKS6_SE_EElS8_S8_SE_T6_
                                        ; -- End function
	.section	.AMDGPU.csdata,"",@progbits
; Kernel info:
; codeLenInByte = 2580
; NumSgprs: 53
; NumVgprs: 24
; NumAgprs: 0
; TotalNumVgprs: 24
; ScratchSize: 0
; MemoryBound: 0
; FloatMode: 240
; IeeeMode: 1
; LDSByteSize: 0 bytes/workgroup (compile time only)
; SGPRBlocks: 6
; VGPRBlocks: 2
; NumSGPRsForWavesPerEU: 53
; NumVGPRsForWavesPerEU: 24
; AccumOffset: 24
; Occupancy: 8
; WaveLimiterHint : 1
; COMPUTE_PGM_RSRC2:SCRATCH_EN: 0
; COMPUTE_PGM_RSRC2:USER_SGPR: 6
; COMPUTE_PGM_RSRC2:TRAP_HANDLER: 0
; COMPUTE_PGM_RSRC2:TGID_X_EN: 1
; COMPUTE_PGM_RSRC2:TGID_Y_EN: 0
; COMPUTE_PGM_RSRC2:TGID_Z_EN: 0
; COMPUTE_PGM_RSRC2:TIDIG_COMP_CNT: 0
; COMPUTE_PGM_RSRC3_GFX90A:ACCUM_OFFSET: 5
; COMPUTE_PGM_RSRC3_GFX90A:TG_SPLIT: 0
	.section	.text._ZN2at4cuda17kernelHistogram1DIlilLi1ELi2ELin1ELNS0_23CUDAHistogramMemoryTypeE1EZNS0_21CUDA_tensor_histogramIliLb0EEEbNS_6TensorES4_S4_lNS_14AccumulateTypeIT0_Lb1EE4typeES8_NS0_13TensorArgTypeES9_S9_EUllE_EEvNS0_6detail10TensorInfoIT_T1_EESF_NSC_IKS6_SE_EElS8_S8_SE_T6_,"axG",@progbits,_ZN2at4cuda17kernelHistogram1DIlilLi1ELi2ELin1ELNS0_23CUDAHistogramMemoryTypeE1EZNS0_21CUDA_tensor_histogramIliLb0EEEbNS_6TensorES4_S4_lNS_14AccumulateTypeIT0_Lb1EE4typeES8_NS0_13TensorArgTypeES9_S9_EUllE_EEvNS0_6detail10TensorInfoIT_T1_EESF_NSC_IKS6_SE_EElS8_S8_SE_T6_,comdat
	.protected	_ZN2at4cuda17kernelHistogram1DIlilLi1ELi2ELin1ELNS0_23CUDAHistogramMemoryTypeE1EZNS0_21CUDA_tensor_histogramIliLb0EEEbNS_6TensorES4_S4_lNS_14AccumulateTypeIT0_Lb1EE4typeES8_NS0_13TensorArgTypeES9_S9_EUllE_EEvNS0_6detail10TensorInfoIT_T1_EESF_NSC_IKS6_SE_EElS8_S8_SE_T6_ ; -- Begin function _ZN2at4cuda17kernelHistogram1DIlilLi1ELi2ELin1ELNS0_23CUDAHistogramMemoryTypeE1EZNS0_21CUDA_tensor_histogramIliLb0EEEbNS_6TensorES4_S4_lNS_14AccumulateTypeIT0_Lb1EE4typeES8_NS0_13TensorArgTypeES9_S9_EUllE_EEvNS0_6detail10TensorInfoIT_T1_EESF_NSC_IKS6_SE_EElS8_S8_SE_T6_
	.globl	_ZN2at4cuda17kernelHistogram1DIlilLi1ELi2ELin1ELNS0_23CUDAHistogramMemoryTypeE1EZNS0_21CUDA_tensor_histogramIliLb0EEEbNS_6TensorES4_S4_lNS_14AccumulateTypeIT0_Lb1EE4typeES8_NS0_13TensorArgTypeES9_S9_EUllE_EEvNS0_6detail10TensorInfoIT_T1_EESF_NSC_IKS6_SE_EElS8_S8_SE_T6_
	.p2align	8
	.type	_ZN2at4cuda17kernelHistogram1DIlilLi1ELi2ELin1ELNS0_23CUDAHistogramMemoryTypeE1EZNS0_21CUDA_tensor_histogramIliLb0EEEbNS_6TensorES4_S4_lNS_14AccumulateTypeIT0_Lb1EE4typeES8_NS0_13TensorArgTypeES9_S9_EUllE_EEvNS0_6detail10TensorInfoIT_T1_EESF_NSC_IKS6_SE_EElS8_S8_SE_T6_,@function
_ZN2at4cuda17kernelHistogram1DIlilLi1ELi2ELin1ELNS0_23CUDAHistogramMemoryTypeE1EZNS0_21CUDA_tensor_histogramIliLb0EEEbNS_6TensorES4_S4_lNS_14AccumulateTypeIT0_Lb1EE4typeES8_NS0_13TensorArgTypeES9_S9_EUllE_EEvNS0_6detail10TensorInfoIT_T1_EESF_NSC_IKS6_SE_EElS8_S8_SE_T6_: ; @_ZN2at4cuda17kernelHistogram1DIlilLi1ELi2ELin1ELNS0_23CUDAHistogramMemoryTypeE1EZNS0_21CUDA_tensor_histogramIliLb0EEEbNS_6TensorES4_S4_lNS_14AccumulateTypeIT0_Lb1EE4typeES8_NS0_13TensorArgTypeES9_S9_EUllE_EEvNS0_6detail10TensorInfoIT_T1_EESF_NSC_IKS6_SE_EElS8_S8_SE_T6_
; %bb.0:
	s_load_dword s2, s[4:5], 0x6ac
	s_load_dwordx8 s[8:15], s[4:5], 0x4e0
	s_add_u32 s0, s4, 0x6a0
	s_addc_u32 s1, s5, 0
	v_mov_b32_e32 v2, 0
	s_waitcnt lgkmcnt(0)
	s_and_b32 s2, s2, 0xffff
	s_mul_i32 s6, s6, s2
	v_add_u32_e32 v0, s6, v0
	v_mov_b32_e32 v1, v2
	v_cmp_gt_i64_e32 vcc, s[14:15], v[0:1]
	s_and_saveexec_b64 s[6:7], vcc
	s_cbranch_execz .LBB29_16
; %bb.1:
	s_load_dwordx2 s[6:7], s[4:5], 0x5d0
	s_load_dwordx2 s[16:17], s[4:5], 0x500
	s_load_dword s3, s[4:5], 0x4d8
	s_load_dwordx2 s[18:19], s[4:5], 0x0
	s_load_dwordx2 s[20:21], s[4:5], 0xd0
	s_load_dword s28, s[0:1], 0x0
	s_add_u32 s26, s4, 0x340
	s_addc_u32 s27, s5, 0
	s_mov_b32 s42, 0
	s_waitcnt lgkmcnt(0)
	s_cmp_gt_i32 s3, 1
	s_cselect_b64 s[0:1], -1, 0
	s_sub_u32 s33, s12, s10
	s_subb_u32 s40, s13, s11
	s_mul_i32 s41, s28, s2
	s_add_i32 s43, s3, 1
	s_add_i32 s2, s3, -1
	s_mov_b32 s3, s42
	s_load_dwordx2 s[22:23], s[4:5], 0x410
	s_load_dwordx2 s[24:25], s[4:5], 0x340
	s_lshl_b64 s[2:3], s[2:3], 3
	s_add_u32 s2, s2, s26
	s_addc_u32 s3, s3, s27
	s_add_u32 s4, s2, 8
	v_cndmask_b32_e64 v3, 0, 1, s[0:1]
	s_addc_u32 s5, s3, 0
	s_mov_b64 s[26:27], 0
	v_cmp_ne_u32_e64 s[0:1], 1, v3
	s_branch .LBB29_4
.LBB29_2:                               ;   in Loop: Header=BB29_4 Depth=1
	s_or_b64 exec, exec, s[2:3]
	v_mul_lo_u32 v3, v1, s6
	v_mul_lo_u32 v7, v0, s7
	v_mad_u64_u32 v[4:5], s[2:3], v0, s6, 0
	v_add3_u32 v5, v5, v7, v3
	v_lshlrev_b64 v[4:5], 3, v[4:5]
	v_mov_b32_e32 v3, s17
	v_add_co_u32_e32 v4, vcc, s16, v4
	v_addc_co_u32_e32 v5, vcc, v3, v5, vcc
	global_load_dwordx2 v[4:5], v[4:5], off
	v_ashrrev_i32_e32 v7, 31, v6
	v_cmp_eq_u64_e32 vcc, s[8:9], v[6:7]
	v_cndmask_b32_e64 v3, 0, 1, vcc
	v_sub_co_u32_e32 v3, vcc, v6, v3
	v_subbrev_co_u32_e32 v6, vcc, 0, v7, vcc
	v_mul_lo_u32 v8, v6, s20
	v_mul_lo_u32 v9, v3, s21
	v_mad_u64_u32 v[6:7], s[2:3], v3, s20, 0
	v_add3_u32 v7, v7, v9, v8
	v_lshlrev_b64 v[6:7], 3, v[6:7]
	v_mov_b32_e32 v3, s19
	v_add_co_u32_e32 v6, vcc, s18, v6
	v_addc_co_u32_e32 v7, vcc, v3, v7, vcc
	s_waitcnt vmcnt(0)
	global_atomic_add_x2 v[6:7], v[4:5], off
.LBB29_3:                               ;   in Loop: Header=BB29_4 Depth=1
	s_or_b64 exec, exec, s[28:29]
	v_mov_b32_e32 v3, s42
	v_add_co_u32_e32 v0, vcc, s41, v0
	v_addc_co_u32_e32 v1, vcc, v1, v3, vcc
	v_cmp_le_i64_e32 vcc, s[14:15], v[0:1]
	s_or_b64 s[26:27], vcc, s[26:27]
	s_andn2_b64 exec, exec, s[26:27]
	s_cbranch_execz .LBB29_16
.LBB29_4:                               ; =>This Loop Header: Depth=1
                                        ;     Child Loop BB29_5 Depth 2
	s_and_b64 vcc, exec, s[0:1]
	v_pk_mov_b32 v[4:5], 0, 0
	s_mov_b64 s[28:29], s[4:5]
	s_mov_b32 s44, s43
	v_pk_mov_b32 v[6:7], v[0:1], v[0:1] op_sel:[0,1]
	v_pk_mov_b32 v[8:9], v[0:1], v[0:1] op_sel:[0,1]
	s_cbranch_vccnz .LBB29_11
.LBB29_5:                               ;   Parent Loop BB29_4 Depth=1
                                        ; =>  This Inner Loop Header: Depth=2
	s_load_dwordx2 s[30:31], s[28:29], 0x0
                                        ; implicit-def: $vgpr8_vgpr9
	s_waitcnt lgkmcnt(0)
	v_or_b32_e32 v3, s31, v7
	v_cmp_ne_u64_e32 vcc, 0, v[2:3]
	s_and_saveexec_b64 s[2:3], vcc
	s_xor_b64 s[34:35], exec, s[2:3]
	s_cbranch_execz .LBB29_7
; %bb.6:                                ;   in Loop: Header=BB29_5 Depth=2
	s_ashr_i32 s36, s31, 31
	s_add_u32 s2, s30, s36
	s_mov_b32 s37, s36
	s_addc_u32 s3, s31, s36
	s_xor_b64 s[38:39], s[2:3], s[36:37]
	v_cvt_f32_u32_e32 v3, s38
	v_cvt_f32_u32_e32 v8, s39
	s_sub_u32 s2, 0, s38
	s_subb_u32 s3, 0, s39
	v_mac_f32_e32 v3, 0x4f800000, v8
	v_rcp_f32_e32 v3, v3
	v_mul_f32_e32 v3, 0x5f7ffffc, v3
	v_mul_f32_e32 v8, 0x2f800000, v3
	v_trunc_f32_e32 v8, v8
	v_mac_f32_e32 v3, 0xcf800000, v8
	v_cvt_u32_f32_e32 v8, v8
	v_cvt_u32_f32_e32 v3, v3
	v_mul_lo_u32 v9, s2, v8
	v_mul_hi_u32 v11, s2, v3
	v_mul_lo_u32 v10, s3, v3
	v_add_u32_e32 v9, v11, v9
	v_mul_lo_u32 v12, s2, v3
	v_add_u32_e32 v9, v9, v10
	v_mul_lo_u32 v11, v3, v9
	v_mul_hi_u32 v13, v3, v12
	v_mul_hi_u32 v10, v3, v9
	v_add_co_u32_e32 v11, vcc, v13, v11
	v_addc_co_u32_e32 v10, vcc, 0, v10, vcc
	v_mul_hi_u32 v14, v8, v12
	v_mul_lo_u32 v12, v8, v12
	v_add_co_u32_e32 v11, vcc, v11, v12
	v_mul_hi_u32 v13, v8, v9
	v_addc_co_u32_e32 v10, vcc, v10, v14, vcc
	v_addc_co_u32_e32 v11, vcc, 0, v13, vcc
	v_mul_lo_u32 v9, v8, v9
	v_add_co_u32_e32 v9, vcc, v10, v9
	v_addc_co_u32_e32 v10, vcc, 0, v11, vcc
	v_add_co_u32_e32 v3, vcc, v3, v9
	v_addc_co_u32_e32 v8, vcc, v8, v10, vcc
	v_mul_lo_u32 v9, s2, v8
	v_mul_hi_u32 v10, s2, v3
	v_add_u32_e32 v9, v10, v9
	v_mul_lo_u32 v10, s3, v3
	v_add_u32_e32 v9, v9, v10
	v_mul_lo_u32 v11, s2, v3
	v_mul_hi_u32 v12, v8, v11
	v_mul_lo_u32 v13, v8, v11
	v_mul_lo_u32 v15, v3, v9
	v_mul_hi_u32 v11, v3, v11
	v_mul_hi_u32 v14, v3, v9
	v_add_co_u32_e32 v11, vcc, v11, v15
	v_addc_co_u32_e32 v14, vcc, 0, v14, vcc
	v_add_co_u32_e32 v11, vcc, v11, v13
	v_mul_hi_u32 v10, v8, v9
	v_addc_co_u32_e32 v11, vcc, v14, v12, vcc
	v_addc_co_u32_e32 v10, vcc, 0, v10, vcc
	v_mul_lo_u32 v9, v8, v9
	v_add_co_u32_e32 v9, vcc, v11, v9
	v_addc_co_u32_e32 v10, vcc, 0, v10, vcc
	v_add_co_u32_e32 v3, vcc, v3, v9
	v_addc_co_u32_e32 v10, vcc, v8, v10, vcc
	v_ashrrev_i32_e32 v12, 31, v7
	v_add_co_u32_e32 v8, vcc, v6, v12
	v_addc_co_u32_e32 v9, vcc, v7, v12, vcc
	v_xor_b32_e32 v14, v8, v12
	v_xor_b32_e32 v13, v9, v12
	v_mad_u64_u32 v[8:9], s[2:3], v14, v10, 0
	v_mul_hi_u32 v11, v14, v3
	v_add_co_u32_e32 v15, vcc, v11, v8
	v_addc_co_u32_e32 v16, vcc, 0, v9, vcc
	v_mad_u64_u32 v[8:9], s[2:3], v13, v10, 0
	v_mad_u64_u32 v[10:11], s[2:3], v13, v3, 0
	v_add_co_u32_e32 v3, vcc, v15, v10
	v_addc_co_u32_e32 v3, vcc, v16, v11, vcc
	v_addc_co_u32_e32 v9, vcc, 0, v9, vcc
	v_add_co_u32_e32 v3, vcc, v3, v8
	v_addc_co_u32_e32 v10, vcc, 0, v9, vcc
	v_mul_lo_u32 v11, s39, v3
	v_mul_lo_u32 v15, s38, v10
	v_mad_u64_u32 v[8:9], s[2:3], s38, v3, 0
	v_add3_u32 v9, v9, v15, v11
	v_sub_u32_e32 v11, v13, v9
	v_mov_b32_e32 v15, s39
	v_sub_co_u32_e32 v8, vcc, v14, v8
	v_subb_co_u32_e64 v11, s[2:3], v11, v15, vcc
	v_subrev_co_u32_e64 v14, s[2:3], s38, v8
	v_subbrev_co_u32_e64 v11, s[2:3], 0, v11, s[2:3]
	v_cmp_le_u32_e64 s[2:3], s39, v11
	v_cndmask_b32_e64 v15, 0, -1, s[2:3]
	v_cmp_le_u32_e64 s[2:3], s38, v14
	v_cndmask_b32_e64 v14, 0, -1, s[2:3]
	v_cmp_eq_u32_e64 s[2:3], s39, v11
	v_cndmask_b32_e64 v11, v15, v14, s[2:3]
	v_add_co_u32_e64 v14, s[2:3], 2, v3
	v_subb_co_u32_e32 v9, vcc, v13, v9, vcc
	v_addc_co_u32_e64 v15, s[2:3], 0, v10, s[2:3]
	v_cmp_le_u32_e32 vcc, s39, v9
	v_add_co_u32_e64 v16, s[2:3], 1, v3
	v_cndmask_b32_e64 v13, 0, -1, vcc
	v_cmp_le_u32_e32 vcc, s38, v8
	v_addc_co_u32_e64 v17, s[2:3], 0, v10, s[2:3]
	v_cndmask_b32_e64 v8, 0, -1, vcc
	v_cmp_eq_u32_e32 vcc, s39, v9
	v_cmp_ne_u32_e64 s[2:3], 0, v11
	v_cndmask_b32_e32 v8, v13, v8, vcc
	v_cmp_ne_u32_e32 vcc, 0, v8
	v_cndmask_b32_e64 v9, v16, v14, s[2:3]
	v_cndmask_b32_e64 v11, v17, v15, s[2:3]
	v_cndmask_b32_e32 v3, v3, v9, vcc
	v_xor_b32_e32 v9, s36, v12
	v_cndmask_b32_e32 v8, v10, v11, vcc
	v_xor_b32_e32 v3, v3, v9
	v_xor_b32_e32 v10, v8, v9
	v_sub_co_u32_e32 v8, vcc, v3, v9
	v_subb_co_u32_e32 v9, vcc, v10, v9, vcc
.LBB29_7:                               ;   in Loop: Header=BB29_5 Depth=2
	s_andn2_saveexec_b64 s[2:3], s[34:35]
	s_cbranch_execz .LBB29_9
; %bb.8:                                ;   in Loop: Header=BB29_5 Depth=2
	v_cvt_f32_u32_e32 v3, s30
	s_sub_i32 s34, 0, s30
	v_rcp_iflag_f32_e32 v3, v3
	v_mul_f32_e32 v3, 0x4f7ffffe, v3
	v_cvt_u32_f32_e32 v3, v3
	v_mul_lo_u32 v8, s34, v3
	v_mul_hi_u32 v8, v3, v8
	v_add_u32_e32 v3, v3, v8
	v_mul_hi_u32 v3, v6, v3
	v_mul_lo_u32 v8, v3, s30
	v_sub_u32_e32 v8, v6, v8
	v_add_u32_e32 v9, 1, v3
	v_subrev_u32_e32 v10, s30, v8
	v_cmp_le_u32_e32 vcc, s30, v8
	v_cndmask_b32_e32 v8, v8, v10, vcc
	v_cndmask_b32_e32 v3, v3, v9, vcc
	v_add_u32_e32 v9, 1, v3
	v_cmp_le_u32_e32 vcc, s30, v8
	v_cndmask_b32_e32 v8, v3, v9, vcc
	v_mov_b32_e32 v9, v2
.LBB29_9:                               ;   in Loop: Header=BB29_5 Depth=2
	s_or_b64 exec, exec, s[2:3]
	v_mad_u64_u32 v[10:11], s[2:3], v8, s30, 0
	s_load_dwordx2 s[2:3], s[28:29], 0xc8
	v_mul_lo_u32 v3, v9, s30
	v_mul_lo_u32 v12, v8, s31
	v_add3_u32 v3, v11, v12, v3
	v_sub_co_u32_e32 v6, vcc, v6, v10
	s_add_i32 s44, s44, -1
	v_subb_co_u32_e32 v3, vcc, v7, v3, vcc
	s_add_u32 s28, s28, -8
	s_waitcnt lgkmcnt(0)
	v_mul_lo_u32 v3, s2, v3
	v_mul_lo_u32 v7, s3, v6
	v_mad_u64_u32 v[4:5], s[2:3], s2, v6, v[4:5]
	s_addc_u32 s29, s29, -1
	s_cmp_gt_u32 s44, 2
	v_add3_u32 v5, v7, v5, v3
	s_cbranch_scc0 .LBB29_11
; %bb.10:                               ;   in Loop: Header=BB29_5 Depth=2
	v_pk_mov_b32 v[6:7], v[8:9], v[8:9] op_sel:[0,1]
	s_branch .LBB29_5
.LBB29_11:                              ;   in Loop: Header=BB29_4 Depth=1
	s_waitcnt lgkmcnt(0)
	v_mul_lo_u32 v3, s23, v8
	v_mul_lo_u32 v9, s22, v9
	v_mad_u64_u32 v[6:7], s[2:3], s22, v8, 0
	v_add3_u32 v7, v7, v9, v3
	v_lshlrev_b64 v[6:7], 2, v[6:7]
	v_mov_b32_e32 v3, s25
	v_add_co_u32_e32 v6, vcc, s24, v6
	v_addc_co_u32_e32 v3, vcc, v3, v7, vcc
	v_lshlrev_b64 v[4:5], 2, v[4:5]
	v_add_co_u32_e32 v4, vcc, v6, v4
	v_addc_co_u32_e32 v5, vcc, v3, v5, vcc
	global_load_dword v4, v[4:5], off
	s_waitcnt vmcnt(0)
	v_ashrrev_i32_e32 v5, 31, v4
	v_cmp_le_i64_e32 vcc, s[10:11], v[4:5]
	v_cmp_ge_i64_e64 s[2:3], s[12:13], v[4:5]
	s_and_b64 s[2:3], vcc, s[2:3]
	s_and_saveexec_b64 s[28:29], s[2:3]
	s_cbranch_execz .LBB29_3
; %bb.12:                               ;   in Loop: Header=BB29_4 Depth=1
	v_mov_b32_e32 v3, s11
	v_subrev_co_u32_e32 v4, vcc, s10, v4
	v_subb_co_u32_e32 v3, vcc, v5, v3, vcc
	v_mul_lo_u32 v3, v3, s8
	v_mul_lo_u32 v6, v4, s9
	v_mad_u64_u32 v[4:5], s[2:3], v4, s8, 0
	v_add3_u32 v5, v5, v6, v3
	v_or_b32_e32 v3, s40, v5
	v_cmp_ne_u64_e32 vcc, 0, v[2:3]
                                        ; implicit-def: $vgpr6_vgpr7
	s_and_saveexec_b64 s[2:3], vcc
	s_xor_b64 s[30:31], exec, s[2:3]
	s_cbranch_execz .LBB29_14
; %bb.13:                               ;   in Loop: Header=BB29_4 Depth=1
	s_ashr_i32 s34, s40, 31
	s_add_u32 s2, s33, s34
	s_mov_b32 s35, s34
	s_addc_u32 s3, s40, s34
	s_xor_b64 s[36:37], s[2:3], s[34:35]
	v_cvt_f32_u32_e32 v3, s36
	v_cvt_f32_u32_e32 v6, s37
	s_sub_u32 s2, 0, s36
	s_subb_u32 s3, 0, s37
	v_mac_f32_e32 v3, 0x4f800000, v6
	v_rcp_f32_e32 v3, v3
	v_mul_f32_e32 v3, 0x5f7ffffc, v3
	v_mul_f32_e32 v6, 0x2f800000, v3
	v_trunc_f32_e32 v6, v6
	v_mac_f32_e32 v3, 0xcf800000, v6
	v_cvt_u32_f32_e32 v6, v6
	v_cvt_u32_f32_e32 v3, v3
	v_mul_lo_u32 v7, s2, v6
	v_mul_hi_u32 v9, s2, v3
	v_mul_lo_u32 v8, s3, v3
	v_add_u32_e32 v7, v9, v7
	v_mul_lo_u32 v10, s2, v3
	v_add_u32_e32 v7, v7, v8
	v_mul_lo_u32 v9, v3, v7
	v_mul_hi_u32 v11, v3, v10
	v_mul_hi_u32 v8, v3, v7
	v_add_co_u32_e32 v9, vcc, v11, v9
	v_addc_co_u32_e32 v8, vcc, 0, v8, vcc
	v_mul_hi_u32 v12, v6, v10
	v_mul_lo_u32 v10, v6, v10
	v_add_co_u32_e32 v9, vcc, v9, v10
	v_mul_hi_u32 v11, v6, v7
	v_addc_co_u32_e32 v8, vcc, v8, v12, vcc
	v_addc_co_u32_e32 v9, vcc, 0, v11, vcc
	v_mul_lo_u32 v7, v6, v7
	v_add_co_u32_e32 v7, vcc, v8, v7
	v_addc_co_u32_e32 v8, vcc, 0, v9, vcc
	v_add_co_u32_e32 v3, vcc, v3, v7
	v_addc_co_u32_e32 v6, vcc, v6, v8, vcc
	v_mul_lo_u32 v7, s2, v6
	v_mul_hi_u32 v8, s2, v3
	v_add_u32_e32 v7, v8, v7
	v_mul_lo_u32 v8, s3, v3
	v_add_u32_e32 v7, v7, v8
	v_mul_lo_u32 v9, s2, v3
	v_mul_hi_u32 v10, v6, v9
	v_mul_lo_u32 v11, v6, v9
	v_mul_lo_u32 v13, v3, v7
	v_mul_hi_u32 v9, v3, v9
	v_mul_hi_u32 v12, v3, v7
	v_add_co_u32_e32 v9, vcc, v9, v13
	v_addc_co_u32_e32 v12, vcc, 0, v12, vcc
	v_add_co_u32_e32 v9, vcc, v9, v11
	v_mul_hi_u32 v8, v6, v7
	v_addc_co_u32_e32 v9, vcc, v12, v10, vcc
	v_addc_co_u32_e32 v8, vcc, 0, v8, vcc
	v_mul_lo_u32 v7, v6, v7
	v_add_co_u32_e32 v7, vcc, v9, v7
	v_addc_co_u32_e32 v8, vcc, 0, v8, vcc
	v_add_co_u32_e32 v3, vcc, v3, v7
	v_addc_co_u32_e32 v6, vcc, v6, v8, vcc
	v_ashrrev_i32_e32 v8, 31, v5
	v_add_co_u32_e32 v4, vcc, v4, v8
	v_addc_co_u32_e32 v5, vcc, v5, v8, vcc
	v_xor_b32_e32 v10, v4, v8
	v_xor_b32_e32 v9, v5, v8
	v_mad_u64_u32 v[4:5], s[2:3], v10, v6, 0
	v_mul_hi_u32 v7, v10, v3
	v_add_co_u32_e32 v11, vcc, v7, v4
	v_addc_co_u32_e32 v12, vcc, 0, v5, vcc
	v_mad_u64_u32 v[4:5], s[2:3], v9, v6, 0
	v_mad_u64_u32 v[6:7], s[2:3], v9, v3, 0
	v_add_co_u32_e32 v3, vcc, v11, v6
	v_addc_co_u32_e32 v3, vcc, v12, v7, vcc
	v_addc_co_u32_e32 v5, vcc, 0, v5, vcc
	v_add_co_u32_e32 v3, vcc, v3, v4
	v_addc_co_u32_e32 v4, vcc, 0, v5, vcc
	v_mul_lo_u32 v6, s37, v3
	v_mul_lo_u32 v7, s36, v4
	v_mad_u64_u32 v[4:5], s[2:3], s36, v3, 0
	v_add3_u32 v5, v5, v7, v6
	v_sub_u32_e32 v6, v9, v5
	v_mov_b32_e32 v7, s37
	v_sub_co_u32_e32 v4, vcc, v10, v4
	v_subb_co_u32_e64 v6, s[2:3], v6, v7, vcc
	v_subrev_co_u32_e64 v7, s[2:3], s36, v4
	v_subbrev_co_u32_e64 v6, s[2:3], 0, v6, s[2:3]
	v_cmp_le_u32_e64 s[2:3], s37, v6
	v_subb_co_u32_e32 v5, vcc, v9, v5, vcc
	v_cndmask_b32_e64 v10, 0, -1, s[2:3]
	v_cmp_le_u32_e64 s[2:3], s36, v7
	v_cmp_le_u32_e32 vcc, s37, v5
	v_cndmask_b32_e64 v7, 0, -1, s[2:3]
	v_cmp_eq_u32_e64 s[2:3], s37, v6
	v_cndmask_b32_e64 v9, 0, -1, vcc
	v_cmp_le_u32_e32 vcc, s36, v4
	v_cndmask_b32_e64 v6, v10, v7, s[2:3]
	v_cndmask_b32_e64 v4, 0, -1, vcc
	v_cmp_eq_u32_e32 vcc, s37, v5
	v_add_co_u32_e64 v7, s[2:3], 2, v3
	v_add_co_u32_e64 v10, s[2:3], 1, v3
	v_cndmask_b32_e32 v4, v9, v4, vcc
	v_cmp_ne_u32_e32 vcc, 0, v6
	v_cndmask_b32_e32 v5, v10, v7, vcc
	v_cmp_ne_u32_e32 vcc, 0, v4
	v_cndmask_b32_e32 v3, v3, v5, vcc
	v_xor_b32_e32 v4, s34, v8
	v_xor_b32_e32 v3, v3, v4
	v_sub_co_u32_e32 v6, vcc, v3, v4
                                        ; implicit-def: $vgpr4_vgpr5
.LBB29_14:                              ;   in Loop: Header=BB29_4 Depth=1
	s_andn2_saveexec_b64 s[2:3], s[30:31]
	s_cbranch_execz .LBB29_2
; %bb.15:                               ;   in Loop: Header=BB29_4 Depth=1
	v_cvt_f32_u32_e32 v3, s33
	s_sub_i32 s30, 0, s33
	v_rcp_iflag_f32_e32 v3, v3
	v_mul_f32_e32 v3, 0x4f7ffffe, v3
	v_cvt_u32_f32_e32 v3, v3
	v_mul_lo_u32 v5, s30, v3
	v_mul_hi_u32 v5, v3, v5
	v_add_u32_e32 v3, v3, v5
	v_mul_hi_u32 v3, v4, v3
	v_mul_lo_u32 v5, v3, s33
	v_sub_u32_e32 v4, v4, v5
	v_add_u32_e32 v6, 1, v3
	v_subrev_u32_e32 v5, s33, v4
	v_cmp_le_u32_e32 vcc, s33, v4
	v_cndmask_b32_e32 v4, v4, v5, vcc
	v_cndmask_b32_e32 v3, v3, v6, vcc
	v_add_u32_e32 v5, 1, v3
	v_cmp_le_u32_e32 vcc, s33, v4
	v_cndmask_b32_e32 v6, v3, v5, vcc
	s_branch .LBB29_2
.LBB29_16:
	s_endpgm
	.section	.rodata,"a",@progbits
	.p2align	6, 0x0
	.amdhsa_kernel _ZN2at4cuda17kernelHistogram1DIlilLi1ELi2ELin1ELNS0_23CUDAHistogramMemoryTypeE1EZNS0_21CUDA_tensor_histogramIliLb0EEEbNS_6TensorES4_S4_lNS_14AccumulateTypeIT0_Lb1EE4typeES8_NS0_13TensorArgTypeES9_S9_EUllE_EEvNS0_6detail10TensorInfoIT_T1_EESF_NSC_IKS6_SE_EElS8_S8_SE_T6_
		.amdhsa_group_segment_fixed_size 0
		.amdhsa_private_segment_fixed_size 0
		.amdhsa_kernarg_size 1952
		.amdhsa_user_sgpr_count 6
		.amdhsa_user_sgpr_private_segment_buffer 1
		.amdhsa_user_sgpr_dispatch_ptr 0
		.amdhsa_user_sgpr_queue_ptr 0
		.amdhsa_user_sgpr_kernarg_segment_ptr 1
		.amdhsa_user_sgpr_dispatch_id 0
		.amdhsa_user_sgpr_flat_scratch_init 0
		.amdhsa_user_sgpr_kernarg_preload_length 0
		.amdhsa_user_sgpr_kernarg_preload_offset 0
		.amdhsa_user_sgpr_private_segment_size 0
		.amdhsa_uses_dynamic_stack 0
		.amdhsa_system_sgpr_private_segment_wavefront_offset 0
		.amdhsa_system_sgpr_workgroup_id_x 1
		.amdhsa_system_sgpr_workgroup_id_y 0
		.amdhsa_system_sgpr_workgroup_id_z 0
		.amdhsa_system_sgpr_workgroup_info 0
		.amdhsa_system_vgpr_workitem_id 0
		.amdhsa_next_free_vgpr 18
		.amdhsa_next_free_sgpr 45
		.amdhsa_accum_offset 20
		.amdhsa_reserve_vcc 1
		.amdhsa_reserve_flat_scratch 0
		.amdhsa_float_round_mode_32 0
		.amdhsa_float_round_mode_16_64 0
		.amdhsa_float_denorm_mode_32 3
		.amdhsa_float_denorm_mode_16_64 3
		.amdhsa_dx10_clamp 1
		.amdhsa_ieee_mode 1
		.amdhsa_fp16_overflow 0
		.amdhsa_tg_split 0
		.amdhsa_exception_fp_ieee_invalid_op 0
		.amdhsa_exception_fp_denorm_src 0
		.amdhsa_exception_fp_ieee_div_zero 0
		.amdhsa_exception_fp_ieee_overflow 0
		.amdhsa_exception_fp_ieee_underflow 0
		.amdhsa_exception_fp_ieee_inexact 0
		.amdhsa_exception_int_div_zero 0
	.end_amdhsa_kernel
	.section	.text._ZN2at4cuda17kernelHistogram1DIlilLi1ELi2ELin1ELNS0_23CUDAHistogramMemoryTypeE1EZNS0_21CUDA_tensor_histogramIliLb0EEEbNS_6TensorES4_S4_lNS_14AccumulateTypeIT0_Lb1EE4typeES8_NS0_13TensorArgTypeES9_S9_EUllE_EEvNS0_6detail10TensorInfoIT_T1_EESF_NSC_IKS6_SE_EElS8_S8_SE_T6_,"axG",@progbits,_ZN2at4cuda17kernelHistogram1DIlilLi1ELi2ELin1ELNS0_23CUDAHistogramMemoryTypeE1EZNS0_21CUDA_tensor_histogramIliLb0EEEbNS_6TensorES4_S4_lNS_14AccumulateTypeIT0_Lb1EE4typeES8_NS0_13TensorArgTypeES9_S9_EUllE_EEvNS0_6detail10TensorInfoIT_T1_EESF_NSC_IKS6_SE_EElS8_S8_SE_T6_,comdat
.Lfunc_end29:
	.size	_ZN2at4cuda17kernelHistogram1DIlilLi1ELi2ELin1ELNS0_23CUDAHistogramMemoryTypeE1EZNS0_21CUDA_tensor_histogramIliLb0EEEbNS_6TensorES4_S4_lNS_14AccumulateTypeIT0_Lb1EE4typeES8_NS0_13TensorArgTypeES9_S9_EUllE_EEvNS0_6detail10TensorInfoIT_T1_EESF_NSC_IKS6_SE_EElS8_S8_SE_T6_, .Lfunc_end29-_ZN2at4cuda17kernelHistogram1DIlilLi1ELi2ELin1ELNS0_23CUDAHistogramMemoryTypeE1EZNS0_21CUDA_tensor_histogramIliLb0EEEbNS_6TensorES4_S4_lNS_14AccumulateTypeIT0_Lb1EE4typeES8_NS0_13TensorArgTypeES9_S9_EUllE_EEvNS0_6detail10TensorInfoIT_T1_EESF_NSC_IKS6_SE_EElS8_S8_SE_T6_
                                        ; -- End function
	.section	.AMDGPU.csdata,"",@progbits
; Kernel info:
; codeLenInByte = 2292
; NumSgprs: 49
; NumVgprs: 18
; NumAgprs: 0
; TotalNumVgprs: 18
; ScratchSize: 0
; MemoryBound: 0
; FloatMode: 240
; IeeeMode: 1
; LDSByteSize: 0 bytes/workgroup (compile time only)
; SGPRBlocks: 6
; VGPRBlocks: 2
; NumSGPRsForWavesPerEU: 49
; NumVGPRsForWavesPerEU: 18
; AccumOffset: 20
; Occupancy: 8
; WaveLimiterHint : 1
; COMPUTE_PGM_RSRC2:SCRATCH_EN: 0
; COMPUTE_PGM_RSRC2:USER_SGPR: 6
; COMPUTE_PGM_RSRC2:TRAP_HANDLER: 0
; COMPUTE_PGM_RSRC2:TGID_X_EN: 1
; COMPUTE_PGM_RSRC2:TGID_Y_EN: 0
; COMPUTE_PGM_RSRC2:TGID_Z_EN: 0
; COMPUTE_PGM_RSRC2:TIDIG_COMP_CNT: 0
; COMPUTE_PGM_RSRC3_GFX90A:ACCUM_OFFSET: 4
; COMPUTE_PGM_RSRC3_GFX90A:TG_SPLIT: 0
	.section	.text._ZN2at4cuda17kernelHistogram1DIlilLi1ELi2ELin1ELNS0_23CUDAHistogramMemoryTypeE0EZNS0_21CUDA_tensor_histogramIliLb0EEEbNS_6TensorES4_S4_lNS_14AccumulateTypeIT0_Lb1EE4typeES8_NS0_13TensorArgTypeES9_S9_EUllE0_EEvNS0_6detail10TensorInfoIT_T1_EESF_NSC_IKS6_SE_EElS8_S8_SE_T6_,"axG",@progbits,_ZN2at4cuda17kernelHistogram1DIlilLi1ELi2ELin1ELNS0_23CUDAHistogramMemoryTypeE0EZNS0_21CUDA_tensor_histogramIliLb0EEEbNS_6TensorES4_S4_lNS_14AccumulateTypeIT0_Lb1EE4typeES8_NS0_13TensorArgTypeES9_S9_EUllE0_EEvNS0_6detail10TensorInfoIT_T1_EESF_NSC_IKS6_SE_EElS8_S8_SE_T6_,comdat
	.protected	_ZN2at4cuda17kernelHistogram1DIlilLi1ELi2ELin1ELNS0_23CUDAHistogramMemoryTypeE0EZNS0_21CUDA_tensor_histogramIliLb0EEEbNS_6TensorES4_S4_lNS_14AccumulateTypeIT0_Lb1EE4typeES8_NS0_13TensorArgTypeES9_S9_EUllE0_EEvNS0_6detail10TensorInfoIT_T1_EESF_NSC_IKS6_SE_EElS8_S8_SE_T6_ ; -- Begin function _ZN2at4cuda17kernelHistogram1DIlilLi1ELi2ELin1ELNS0_23CUDAHistogramMemoryTypeE0EZNS0_21CUDA_tensor_histogramIliLb0EEEbNS_6TensorES4_S4_lNS_14AccumulateTypeIT0_Lb1EE4typeES8_NS0_13TensorArgTypeES9_S9_EUllE0_EEvNS0_6detail10TensorInfoIT_T1_EESF_NSC_IKS6_SE_EElS8_S8_SE_T6_
	.globl	_ZN2at4cuda17kernelHistogram1DIlilLi1ELi2ELin1ELNS0_23CUDAHistogramMemoryTypeE0EZNS0_21CUDA_tensor_histogramIliLb0EEEbNS_6TensorES4_S4_lNS_14AccumulateTypeIT0_Lb1EE4typeES8_NS0_13TensorArgTypeES9_S9_EUllE0_EEvNS0_6detail10TensorInfoIT_T1_EESF_NSC_IKS6_SE_EElS8_S8_SE_T6_
	.p2align	8
	.type	_ZN2at4cuda17kernelHistogram1DIlilLi1ELi2ELin1ELNS0_23CUDAHistogramMemoryTypeE0EZNS0_21CUDA_tensor_histogramIliLb0EEEbNS_6TensorES4_S4_lNS_14AccumulateTypeIT0_Lb1EE4typeES8_NS0_13TensorArgTypeES9_S9_EUllE0_EEvNS0_6detail10TensorInfoIT_T1_EESF_NSC_IKS6_SE_EElS8_S8_SE_T6_,@function
_ZN2at4cuda17kernelHistogram1DIlilLi1ELi2ELin1ELNS0_23CUDAHistogramMemoryTypeE0EZNS0_21CUDA_tensor_histogramIliLb0EEEbNS_6TensorES4_S4_lNS_14AccumulateTypeIT0_Lb1EE4typeES8_NS0_13TensorArgTypeES9_S9_EUllE0_EEvNS0_6detail10TensorInfoIT_T1_EESF_NSC_IKS6_SE_EElS8_S8_SE_T6_: ; @_ZN2at4cuda17kernelHistogram1DIlilLi1ELi2ELin1ELNS0_23CUDAHistogramMemoryTypeE0EZNS0_21CUDA_tensor_histogramIliLb0EEEbNS_6TensorES4_S4_lNS_14AccumulateTypeIT0_Lb1EE4typeES8_NS0_13TensorArgTypeES9_S9_EUllE0_EEvNS0_6detail10TensorInfoIT_T1_EESF_NSC_IKS6_SE_EElS8_S8_SE_T6_
; %bb.0:
	s_load_dwordx4 s[16:19], s[4:5], 0x0
	v_mov_b32_e32 v1, 0
	s_add_u32 s2, s4, 0x508
	s_addc_u32 s3, s5, 0
                                        ; implicit-def: $sgpr7
                                        ; implicit-def: $sgpr10
	s_waitcnt lgkmcnt(0)
	v_cmp_gt_i64_e64 s[0:1], s[18:19], v[0:1]
	v_cmp_le_i64_e32 vcc, s[18:19], v[0:1]
	s_and_saveexec_b64 s[8:9], vcc
	s_xor_b64 s[8:9], exec, s[8:9]
	s_cbranch_execz .LBB30_2
; %bb.1:
	s_load_dword s7, s[2:3], 0xc
	s_waitcnt lgkmcnt(0)
	s_and_b32 s10, s7, 0xffff
.LBB30_2:
	s_or_saveexec_b64 s[8:9], s[8:9]
	s_load_dwordx2 s[20:21], s[4:5], 0xd0
	v_mov_b32_e32 v7, s7
	v_mov_b32_e32 v15, s10
	v_lshl_add_u32 v14, v0, 3, 0
	s_xor_b64 exec, exec, s[8:9]
	s_cbranch_execz .LBB30_6
; %bb.3:
	s_load_dword s7, s[2:3], 0xc
	s_mov_b32 s14, 0
	v_mov_b32_e32 v2, 0
	v_lshl_add_u32 v6, v0, 3, 0
	s_mov_b64 s[10:11], 0
	s_waitcnt lgkmcnt(0)
	s_and_b32 s12, s7, 0xffff
	s_lshl_b32 s13, s12, 3
	v_mov_b32_e32 v3, v2
	v_mov_b32_e32 v7, s14
	v_pk_mov_b32 v[4:5], v[0:1], v[0:1] op_sel:[0,1]
.LBB30_4:                               ; =>This Inner Loop Header: Depth=1
	v_add_co_u32_e32 v4, vcc, s12, v4
	v_addc_co_u32_e32 v5, vcc, v5, v7, vcc
	v_cmp_le_i64_e32 vcc, s[18:19], v[4:5]
	ds_write_b64 v6, v[2:3]
	s_or_b64 s[10:11], vcc, s[10:11]
	v_add_u32_e32 v6, s13, v6
	s_andn2_b64 exec, exec, s[10:11]
	s_cbranch_execnz .LBB30_4
; %bb.5:
	s_or_b64 exec, exec, s[10:11]
	v_mov_b32_e32 v7, s7
	v_mov_b32_e32 v15, s12
.LBB30_6:
	s_or_b64 exec, exec, s[8:9]
	s_load_dwordx8 s[8:15], s[4:5], 0x4e0
	v_mad_u64_u32 v[2:3], s[6:7], s6, v15, v[0:1]
	v_mov_b32_e32 v4, 0
	v_mov_b32_e32 v3, v4
	s_waitcnt lgkmcnt(0)
	v_cmp_gt_i64_e32 vcc, s[14:15], v[2:3]
	s_barrier
	s_and_saveexec_b64 s[6:7], vcc
	s_cbranch_execz .LBB30_22
; %bb.7:
	s_load_dword s26, s[4:5], 0x4d8
	s_load_dwordx2 s[22:23], s[4:5], 0x410
	s_load_dwordx2 s[24:25], s[4:5], 0x340
	s_add_u32 s27, s4, 0x340
	s_addc_u32 s29, s5, 0
	s_waitcnt lgkmcnt(0)
	s_cmp_gt_i32 s26, 1
	s_load_dword s28, s[2:3], 0x0
	s_cselect_b64 s[2:3], -1, 0
	s_sub_u32 s33, s12, s10
	s_subb_u32 s42, s13, s11
	s_mov_b32 s5, 0
	s_add_i32 s4, s26, -1
	s_add_i32 s43, s26, 1
	s_lshl_b64 s[4:5], s[4:5], 3
	s_add_u32 s4, s4, s27
	s_addc_u32 s5, s5, s29
	s_add_u32 s26, s4, 8
	v_cndmask_b32_e64 v5, 0, 1, s[2:3]
	s_waitcnt lgkmcnt(0)
	v_mul_lo_u32 v6, s28, v15
	s_addc_u32 s27, s5, 0
	s_mov_b64 s[28:29], 0
	v_cmp_ne_u32_e64 s[2:3], 1, v5
	s_branch .LBB30_10
.LBB30_8:                               ;   in Loop: Header=BB30_10 Depth=1
	s_or_b64 exec, exec, s[4:5]
	v_ashrrev_i32_e32 v11, 31, v10
	v_cmp_eq_u64_e32 vcc, s[8:9], v[10:11]
	v_subbrev_co_u32_e32 v5, vcc, 0, v10, vcc
	v_mov_b32_e32 v8, 1
	v_lshl_add_u32 v5, v5, 3, 0
	v_mov_b32_e32 v9, 0
	ds_add_u64 v5, v[8:9]
.LBB30_9:                               ;   in Loop: Header=BB30_10 Depth=1
	s_or_b64 exec, exec, s[30:31]
	v_add_co_u32_e32 v2, vcc, v2, v6
	v_addc_co_u32_e32 v3, vcc, 0, v3, vcc
	v_cmp_le_i64_e32 vcc, s[14:15], v[2:3]
	s_or_b64 s[28:29], vcc, s[28:29]
	s_andn2_b64 exec, exec, s[28:29]
	s_cbranch_execz .LBB30_22
.LBB30_10:                              ; =>This Loop Header: Depth=1
                                        ;     Child Loop BB30_11 Depth 2
	s_and_b64 vcc, exec, s[2:3]
	v_pk_mov_b32 v[8:9], 0, 0
	s_mov_b64 s[30:31], s[26:27]
	s_mov_b32 s44, s43
	v_pk_mov_b32 v[10:11], v[2:3], v[2:3] op_sel:[0,1]
	v_pk_mov_b32 v[12:13], v[2:3], v[2:3] op_sel:[0,1]
	s_cbranch_vccnz .LBB30_17
.LBB30_11:                              ;   Parent Loop BB30_10 Depth=1
                                        ; =>  This Inner Loop Header: Depth=2
	s_load_dwordx2 s[34:35], s[30:31], 0x0
                                        ; implicit-def: $vgpr12_vgpr13
	s_waitcnt lgkmcnt(0)
	v_or_b32_e32 v5, s35, v11
	v_cmp_ne_u64_e32 vcc, 0, v[4:5]
	s_and_saveexec_b64 s[4:5], vcc
	s_xor_b64 s[36:37], exec, s[4:5]
	s_cbranch_execz .LBB30_13
; %bb.12:                               ;   in Loop: Header=BB30_11 Depth=2
	s_ashr_i32 s38, s35, 31
	s_add_u32 s4, s34, s38
	s_mov_b32 s39, s38
	s_addc_u32 s5, s35, s38
	s_xor_b64 s[40:41], s[4:5], s[38:39]
	v_cvt_f32_u32_e32 v5, s40
	v_cvt_f32_u32_e32 v12, s41
	s_sub_u32 s4, 0, s40
	s_subb_u32 s5, 0, s41
	v_mac_f32_e32 v5, 0x4f800000, v12
	v_rcp_f32_e32 v5, v5
	v_mul_f32_e32 v5, 0x5f7ffffc, v5
	v_mul_f32_e32 v12, 0x2f800000, v5
	v_trunc_f32_e32 v12, v12
	v_mac_f32_e32 v5, 0xcf800000, v12
	v_cvt_u32_f32_e32 v12, v12
	v_cvt_u32_f32_e32 v5, v5
	v_mul_lo_u32 v13, s4, v12
	v_mul_hi_u32 v17, s4, v5
	v_mul_lo_u32 v16, s5, v5
	v_add_u32_e32 v13, v17, v13
	v_mul_lo_u32 v18, s4, v5
	v_add_u32_e32 v13, v13, v16
	v_mul_lo_u32 v17, v5, v13
	v_mul_hi_u32 v19, v5, v18
	v_mul_hi_u32 v16, v5, v13
	v_add_co_u32_e32 v17, vcc, v19, v17
	v_addc_co_u32_e32 v16, vcc, 0, v16, vcc
	v_mul_hi_u32 v20, v12, v18
	v_mul_lo_u32 v18, v12, v18
	v_add_co_u32_e32 v17, vcc, v17, v18
	v_mul_hi_u32 v19, v12, v13
	v_addc_co_u32_e32 v16, vcc, v16, v20, vcc
	v_addc_co_u32_e32 v17, vcc, 0, v19, vcc
	v_mul_lo_u32 v13, v12, v13
	v_add_co_u32_e32 v13, vcc, v16, v13
	v_addc_co_u32_e32 v16, vcc, 0, v17, vcc
	v_add_co_u32_e32 v5, vcc, v5, v13
	v_addc_co_u32_e32 v12, vcc, v12, v16, vcc
	v_mul_lo_u32 v13, s4, v12
	v_mul_hi_u32 v16, s4, v5
	v_add_u32_e32 v13, v16, v13
	v_mul_lo_u32 v16, s5, v5
	v_add_u32_e32 v13, v13, v16
	v_mul_lo_u32 v17, s4, v5
	v_mul_hi_u32 v18, v12, v17
	v_mul_lo_u32 v19, v12, v17
	v_mul_lo_u32 v21, v5, v13
	v_mul_hi_u32 v17, v5, v17
	v_mul_hi_u32 v20, v5, v13
	v_add_co_u32_e32 v17, vcc, v17, v21
	v_addc_co_u32_e32 v20, vcc, 0, v20, vcc
	v_add_co_u32_e32 v17, vcc, v17, v19
	v_mul_hi_u32 v16, v12, v13
	v_addc_co_u32_e32 v17, vcc, v20, v18, vcc
	v_addc_co_u32_e32 v16, vcc, 0, v16, vcc
	v_mul_lo_u32 v13, v12, v13
	v_add_co_u32_e32 v13, vcc, v17, v13
	v_addc_co_u32_e32 v16, vcc, 0, v16, vcc
	v_add_co_u32_e32 v5, vcc, v5, v13
	v_addc_co_u32_e32 v16, vcc, v12, v16, vcc
	v_ashrrev_i32_e32 v18, 31, v11
	v_add_co_u32_e32 v12, vcc, v10, v18
	v_addc_co_u32_e32 v13, vcc, v11, v18, vcc
	v_xor_b32_e32 v20, v12, v18
	v_xor_b32_e32 v19, v13, v18
	v_mad_u64_u32 v[12:13], s[4:5], v20, v16, 0
	v_mul_hi_u32 v17, v20, v5
	v_add_co_u32_e32 v21, vcc, v17, v12
	v_addc_co_u32_e32 v22, vcc, 0, v13, vcc
	v_mad_u64_u32 v[12:13], s[4:5], v19, v16, 0
	v_mad_u64_u32 v[16:17], s[4:5], v19, v5, 0
	v_add_co_u32_e32 v5, vcc, v21, v16
	v_addc_co_u32_e32 v5, vcc, v22, v17, vcc
	v_addc_co_u32_e32 v13, vcc, 0, v13, vcc
	v_add_co_u32_e32 v5, vcc, v5, v12
	v_addc_co_u32_e32 v16, vcc, 0, v13, vcc
	v_mul_lo_u32 v17, s41, v5
	v_mul_lo_u32 v21, s40, v16
	v_mad_u64_u32 v[12:13], s[4:5], s40, v5, 0
	v_add3_u32 v13, v13, v21, v17
	v_sub_u32_e32 v17, v19, v13
	v_mov_b32_e32 v21, s41
	v_sub_co_u32_e32 v12, vcc, v20, v12
	v_subb_co_u32_e64 v17, s[4:5], v17, v21, vcc
	v_subrev_co_u32_e64 v20, s[4:5], s40, v12
	v_subbrev_co_u32_e64 v17, s[4:5], 0, v17, s[4:5]
	v_cmp_le_u32_e64 s[4:5], s41, v17
	v_cndmask_b32_e64 v21, 0, -1, s[4:5]
	v_cmp_le_u32_e64 s[4:5], s40, v20
	v_cndmask_b32_e64 v20, 0, -1, s[4:5]
	v_cmp_eq_u32_e64 s[4:5], s41, v17
	v_cndmask_b32_e64 v17, v21, v20, s[4:5]
	v_add_co_u32_e64 v20, s[4:5], 2, v5
	v_subb_co_u32_e32 v13, vcc, v19, v13, vcc
	v_addc_co_u32_e64 v21, s[4:5], 0, v16, s[4:5]
	v_cmp_le_u32_e32 vcc, s41, v13
	v_add_co_u32_e64 v22, s[4:5], 1, v5
	v_cndmask_b32_e64 v19, 0, -1, vcc
	v_cmp_le_u32_e32 vcc, s40, v12
	v_addc_co_u32_e64 v23, s[4:5], 0, v16, s[4:5]
	v_cndmask_b32_e64 v12, 0, -1, vcc
	v_cmp_eq_u32_e32 vcc, s41, v13
	v_cmp_ne_u32_e64 s[4:5], 0, v17
	v_cndmask_b32_e32 v12, v19, v12, vcc
	v_cmp_ne_u32_e32 vcc, 0, v12
	v_cndmask_b32_e64 v13, v22, v20, s[4:5]
	v_cndmask_b32_e64 v17, v23, v21, s[4:5]
	v_cndmask_b32_e32 v5, v5, v13, vcc
	v_xor_b32_e32 v13, s38, v18
	v_cndmask_b32_e32 v12, v16, v17, vcc
	v_xor_b32_e32 v5, v5, v13
	v_xor_b32_e32 v16, v12, v13
	v_sub_co_u32_e32 v12, vcc, v5, v13
	v_subb_co_u32_e32 v13, vcc, v16, v13, vcc
.LBB30_13:                              ;   in Loop: Header=BB30_11 Depth=2
	s_andn2_saveexec_b64 s[4:5], s[36:37]
	s_cbranch_execz .LBB30_15
; %bb.14:                               ;   in Loop: Header=BB30_11 Depth=2
	v_cvt_f32_u32_e32 v5, s34
	s_sub_i32 s36, 0, s34
	v_rcp_iflag_f32_e32 v5, v5
	v_mul_f32_e32 v5, 0x4f7ffffe, v5
	v_cvt_u32_f32_e32 v5, v5
	v_mul_lo_u32 v12, s36, v5
	v_mul_hi_u32 v12, v5, v12
	v_add_u32_e32 v5, v5, v12
	v_mul_hi_u32 v5, v10, v5
	v_mul_lo_u32 v12, v5, s34
	v_sub_u32_e32 v12, v10, v12
	v_add_u32_e32 v13, 1, v5
	v_subrev_u32_e32 v16, s34, v12
	v_cmp_le_u32_e32 vcc, s34, v12
	v_cndmask_b32_e32 v12, v12, v16, vcc
	v_cndmask_b32_e32 v5, v5, v13, vcc
	v_add_u32_e32 v13, 1, v5
	v_cmp_le_u32_e32 vcc, s34, v12
	v_cndmask_b32_e32 v12, v5, v13, vcc
	v_mov_b32_e32 v13, v4
.LBB30_15:                              ;   in Loop: Header=BB30_11 Depth=2
	s_or_b64 exec, exec, s[4:5]
	v_mad_u64_u32 v[16:17], s[4:5], v12, s34, 0
	s_load_dwordx2 s[4:5], s[30:31], 0xc8
	v_mul_lo_u32 v5, v13, s34
	v_mul_lo_u32 v18, v12, s35
	v_add3_u32 v5, v17, v18, v5
	v_sub_co_u32_e32 v10, vcc, v10, v16
	s_add_i32 s44, s44, -1
	v_subb_co_u32_e32 v5, vcc, v11, v5, vcc
	s_add_u32 s30, s30, -8
	s_waitcnt lgkmcnt(0)
	v_mul_lo_u32 v5, s4, v5
	v_mul_lo_u32 v11, s5, v10
	v_mad_u64_u32 v[8:9], s[4:5], s4, v10, v[8:9]
	s_addc_u32 s31, s31, -1
	s_cmp_gt_u32 s44, 2
	v_add3_u32 v9, v11, v9, v5
	s_cbranch_scc0 .LBB30_17
; %bb.16:                               ;   in Loop: Header=BB30_11 Depth=2
	v_pk_mov_b32 v[10:11], v[12:13], v[12:13] op_sel:[0,1]
	s_branch .LBB30_11
.LBB30_17:                              ;   in Loop: Header=BB30_10 Depth=1
	v_mul_lo_u32 v5, s23, v12
	v_mul_lo_u32 v13, s22, v13
	v_mad_u64_u32 v[10:11], s[4:5], s22, v12, 0
	v_add3_u32 v11, v11, v13, v5
	v_lshlrev_b64 v[10:11], 2, v[10:11]
	v_mov_b32_e32 v5, s25
	v_add_co_u32_e32 v10, vcc, s24, v10
	v_addc_co_u32_e32 v5, vcc, v5, v11, vcc
	v_lshlrev_b64 v[8:9], 2, v[8:9]
	v_add_co_u32_e32 v8, vcc, v10, v8
	v_addc_co_u32_e32 v9, vcc, v5, v9, vcc
	global_load_dword v8, v[8:9], off
	s_waitcnt vmcnt(0)
	v_ashrrev_i32_e32 v9, 31, v8
	v_cmp_le_i64_e32 vcc, s[10:11], v[8:9]
	v_cmp_ge_i64_e64 s[4:5], s[12:13], v[8:9]
	s_and_b64 s[4:5], vcc, s[4:5]
	s_and_saveexec_b64 s[30:31], s[4:5]
	s_cbranch_execz .LBB30_9
; %bb.18:                               ;   in Loop: Header=BB30_10 Depth=1
	v_mov_b32_e32 v5, s11
	v_subrev_co_u32_e32 v8, vcc, s10, v8
	v_subb_co_u32_e32 v5, vcc, v9, v5, vcc
	v_mul_lo_u32 v5, v5, s8
	v_mul_lo_u32 v10, v8, s9
	v_mad_u64_u32 v[8:9], s[4:5], v8, s8, 0
	v_add3_u32 v9, v9, v10, v5
	v_or_b32_e32 v5, s42, v9
	v_cmp_ne_u64_e32 vcc, 0, v[4:5]
                                        ; implicit-def: $vgpr10_vgpr11
	s_and_saveexec_b64 s[4:5], vcc
	s_xor_b64 s[34:35], exec, s[4:5]
	s_cbranch_execz .LBB30_20
; %bb.19:                               ;   in Loop: Header=BB30_10 Depth=1
	s_ashr_i32 s36, s42, 31
	s_add_u32 s4, s33, s36
	s_mov_b32 s37, s36
	s_addc_u32 s5, s42, s36
	s_xor_b64 s[38:39], s[4:5], s[36:37]
	v_cvt_f32_u32_e32 v5, s38
	v_cvt_f32_u32_e32 v10, s39
	s_sub_u32 s4, 0, s38
	s_subb_u32 s5, 0, s39
	v_mac_f32_e32 v5, 0x4f800000, v10
	v_rcp_f32_e32 v5, v5
	v_mul_f32_e32 v5, 0x5f7ffffc, v5
	v_mul_f32_e32 v10, 0x2f800000, v5
	v_trunc_f32_e32 v10, v10
	v_mac_f32_e32 v5, 0xcf800000, v10
	v_cvt_u32_f32_e32 v10, v10
	v_cvt_u32_f32_e32 v5, v5
	v_mul_lo_u32 v11, s4, v10
	v_mul_hi_u32 v13, s4, v5
	v_mul_lo_u32 v12, s5, v5
	v_add_u32_e32 v11, v13, v11
	v_mul_lo_u32 v16, s4, v5
	v_add_u32_e32 v11, v11, v12
	v_mul_lo_u32 v13, v5, v11
	v_mul_hi_u32 v17, v5, v16
	v_mul_hi_u32 v12, v5, v11
	v_add_co_u32_e32 v13, vcc, v17, v13
	v_addc_co_u32_e32 v12, vcc, 0, v12, vcc
	v_mul_hi_u32 v18, v10, v16
	v_mul_lo_u32 v16, v10, v16
	v_add_co_u32_e32 v13, vcc, v13, v16
	v_mul_hi_u32 v17, v10, v11
	v_addc_co_u32_e32 v12, vcc, v12, v18, vcc
	v_addc_co_u32_e32 v13, vcc, 0, v17, vcc
	v_mul_lo_u32 v11, v10, v11
	v_add_co_u32_e32 v11, vcc, v12, v11
	v_addc_co_u32_e32 v12, vcc, 0, v13, vcc
	v_add_co_u32_e32 v5, vcc, v5, v11
	v_addc_co_u32_e32 v10, vcc, v10, v12, vcc
	v_mul_lo_u32 v11, s4, v10
	v_mul_hi_u32 v12, s4, v5
	v_add_u32_e32 v11, v12, v11
	v_mul_lo_u32 v12, s5, v5
	v_add_u32_e32 v11, v11, v12
	v_mul_lo_u32 v13, s4, v5
	v_mul_hi_u32 v16, v10, v13
	v_mul_lo_u32 v17, v10, v13
	v_mul_lo_u32 v19, v5, v11
	v_mul_hi_u32 v13, v5, v13
	v_mul_hi_u32 v18, v5, v11
	v_add_co_u32_e32 v13, vcc, v13, v19
	v_addc_co_u32_e32 v18, vcc, 0, v18, vcc
	v_add_co_u32_e32 v13, vcc, v13, v17
	v_mul_hi_u32 v12, v10, v11
	v_addc_co_u32_e32 v13, vcc, v18, v16, vcc
	v_addc_co_u32_e32 v12, vcc, 0, v12, vcc
	v_mul_lo_u32 v11, v10, v11
	v_add_co_u32_e32 v11, vcc, v13, v11
	v_addc_co_u32_e32 v12, vcc, 0, v12, vcc
	v_add_co_u32_e32 v5, vcc, v5, v11
	v_addc_co_u32_e32 v10, vcc, v10, v12, vcc
	v_ashrrev_i32_e32 v12, 31, v9
	v_add_co_u32_e32 v8, vcc, v8, v12
	v_addc_co_u32_e32 v9, vcc, v9, v12, vcc
	v_xor_b32_e32 v16, v8, v12
	v_xor_b32_e32 v13, v9, v12
	v_mad_u64_u32 v[8:9], s[4:5], v16, v10, 0
	v_mul_hi_u32 v11, v16, v5
	v_add_co_u32_e32 v17, vcc, v11, v8
	v_addc_co_u32_e32 v18, vcc, 0, v9, vcc
	v_mad_u64_u32 v[8:9], s[4:5], v13, v10, 0
	v_mad_u64_u32 v[10:11], s[4:5], v13, v5, 0
	v_add_co_u32_e32 v5, vcc, v17, v10
	v_addc_co_u32_e32 v5, vcc, v18, v11, vcc
	v_addc_co_u32_e32 v9, vcc, 0, v9, vcc
	v_add_co_u32_e32 v5, vcc, v5, v8
	v_addc_co_u32_e32 v8, vcc, 0, v9, vcc
	v_mul_lo_u32 v10, s39, v5
	v_mul_lo_u32 v11, s38, v8
	v_mad_u64_u32 v[8:9], s[4:5], s38, v5, 0
	v_add3_u32 v9, v9, v11, v10
	v_sub_u32_e32 v10, v13, v9
	v_mov_b32_e32 v11, s39
	v_sub_co_u32_e32 v8, vcc, v16, v8
	v_subb_co_u32_e64 v10, s[4:5], v10, v11, vcc
	v_subrev_co_u32_e64 v11, s[4:5], s38, v8
	v_subbrev_co_u32_e64 v10, s[4:5], 0, v10, s[4:5]
	v_cmp_le_u32_e64 s[4:5], s39, v10
	v_subb_co_u32_e32 v9, vcc, v13, v9, vcc
	v_cndmask_b32_e64 v16, 0, -1, s[4:5]
	v_cmp_le_u32_e64 s[4:5], s38, v11
	v_cmp_le_u32_e32 vcc, s39, v9
	v_cndmask_b32_e64 v11, 0, -1, s[4:5]
	v_cmp_eq_u32_e64 s[4:5], s39, v10
	v_cndmask_b32_e64 v13, 0, -1, vcc
	v_cmp_le_u32_e32 vcc, s38, v8
	v_cndmask_b32_e64 v10, v16, v11, s[4:5]
	v_cndmask_b32_e64 v8, 0, -1, vcc
	v_cmp_eq_u32_e32 vcc, s39, v9
	v_add_co_u32_e64 v11, s[4:5], 2, v5
	v_add_co_u32_e64 v16, s[4:5], 1, v5
	v_cndmask_b32_e32 v8, v13, v8, vcc
	v_cmp_ne_u32_e32 vcc, 0, v10
	v_cndmask_b32_e32 v9, v16, v11, vcc
	v_cmp_ne_u32_e32 vcc, 0, v8
	v_cndmask_b32_e32 v5, v5, v9, vcc
	v_xor_b32_e32 v8, s36, v12
	v_xor_b32_e32 v5, v5, v8
	v_sub_co_u32_e32 v10, vcc, v5, v8
                                        ; implicit-def: $vgpr8_vgpr9
.LBB30_20:                              ;   in Loop: Header=BB30_10 Depth=1
	s_andn2_saveexec_b64 s[4:5], s[34:35]
	s_cbranch_execz .LBB30_8
; %bb.21:                               ;   in Loop: Header=BB30_10 Depth=1
	v_cvt_f32_u32_e32 v5, s33
	s_sub_i32 s34, 0, s33
	v_rcp_iflag_f32_e32 v5, v5
	v_mul_f32_e32 v5, 0x4f7ffffe, v5
	v_cvt_u32_f32_e32 v5, v5
	v_mul_lo_u32 v9, s34, v5
	v_mul_hi_u32 v9, v5, v9
	v_add_u32_e32 v5, v5, v9
	v_mul_hi_u32 v5, v8, v5
	v_mul_lo_u32 v9, v5, s33
	v_sub_u32_e32 v8, v8, v9
	v_add_u32_e32 v10, 1, v5
	v_subrev_u32_e32 v9, s33, v8
	v_cmp_le_u32_e32 vcc, s33, v8
	v_cndmask_b32_e32 v8, v8, v9, vcc
	v_cndmask_b32_e32 v5, v5, v10, vcc
	v_add_u32_e32 v9, 1, v5
	v_cmp_le_u32_e32 vcc, s33, v8
	v_cndmask_b32_e32 v10, v5, v9, vcc
	s_branch .LBB30_8
.LBB30_22:
	s_or_b64 exec, exec, s[6:7]
; %bb.23:
	s_waitcnt lgkmcnt(0)
	s_barrier
	s_and_saveexec_b64 s[2:3], s[0:1]
	s_cbranch_execz .LBB30_26
; %bb.24:
	v_mad_u64_u32 v[4:5], s[0:1], s20, v0, 0
	v_mov_b32_e32 v6, v5
	v_and_b32_e32 v2, 0xffff, v7
	v_mad_u64_u32 v[6:7], s[0:1], s21, v0, v[6:7]
	v_mov_b32_e32 v5, v6
	v_mad_u64_u32 v[6:7], s[0:1], s20, v2, 0
	v_mov_b32_e32 v8, v7
	v_lshlrev_b64 v[4:5], 3, v[4:5]
	v_mad_u64_u32 v[8:9], s[0:1], s21, v2, v[8:9]
	v_mov_b32_e32 v3, s17
	v_add_co_u32_e32 v4, vcc, s16, v4
	v_mov_b32_e32 v7, v8
	v_addc_co_u32_e32 v5, vcc, v3, v5, vcc
	v_lshlrev_b64 v[6:7], 3, v[6:7]
	v_lshlrev_b32_e32 v3, 3, v15
	s_mov_b64 s[0:1], 0
.LBB30_25:                              ; =>This Inner Loop Header: Depth=1
	ds_read_b64 v[8:9], v14
	v_add_co_u32_e32 v0, vcc, v0, v2
	v_addc_co_u32_e32 v1, vcc, 0, v1, vcc
	s_waitcnt lgkmcnt(0)
	global_atomic_add_x2 v[4:5], v[8:9], off
	v_cmp_le_i64_e32 vcc, s[18:19], v[0:1]
	s_or_b64 s[0:1], vcc, s[0:1]
	v_add_co_u32_e32 v4, vcc, v4, v6
	v_add_u32_e32 v14, v14, v3
	v_addc_co_u32_e32 v5, vcc, v5, v7, vcc
	s_andn2_b64 exec, exec, s[0:1]
	s_cbranch_execnz .LBB30_25
.LBB30_26:
	s_endpgm
	.section	.rodata,"a",@progbits
	.p2align	6, 0x0
	.amdhsa_kernel _ZN2at4cuda17kernelHistogram1DIlilLi1ELi2ELin1ELNS0_23CUDAHistogramMemoryTypeE0EZNS0_21CUDA_tensor_histogramIliLb0EEEbNS_6TensorES4_S4_lNS_14AccumulateTypeIT0_Lb1EE4typeES8_NS0_13TensorArgTypeES9_S9_EUllE0_EEvNS0_6detail10TensorInfoIT_T1_EESF_NSC_IKS6_SE_EElS8_S8_SE_T6_
		.amdhsa_group_segment_fixed_size 0
		.amdhsa_private_segment_fixed_size 0
		.amdhsa_kernarg_size 1544
		.amdhsa_user_sgpr_count 6
		.amdhsa_user_sgpr_private_segment_buffer 1
		.amdhsa_user_sgpr_dispatch_ptr 0
		.amdhsa_user_sgpr_queue_ptr 0
		.amdhsa_user_sgpr_kernarg_segment_ptr 1
		.amdhsa_user_sgpr_dispatch_id 0
		.amdhsa_user_sgpr_flat_scratch_init 0
		.amdhsa_user_sgpr_kernarg_preload_length 0
		.amdhsa_user_sgpr_kernarg_preload_offset 0
		.amdhsa_user_sgpr_private_segment_size 0
		.amdhsa_uses_dynamic_stack 0
		.amdhsa_system_sgpr_private_segment_wavefront_offset 0
		.amdhsa_system_sgpr_workgroup_id_x 1
		.amdhsa_system_sgpr_workgroup_id_y 0
		.amdhsa_system_sgpr_workgroup_id_z 0
		.amdhsa_system_sgpr_workgroup_info 0
		.amdhsa_system_vgpr_workitem_id 0
		.amdhsa_next_free_vgpr 24
		.amdhsa_next_free_sgpr 45
		.amdhsa_accum_offset 24
		.amdhsa_reserve_vcc 1
		.amdhsa_reserve_flat_scratch 0
		.amdhsa_float_round_mode_32 0
		.amdhsa_float_round_mode_16_64 0
		.amdhsa_float_denorm_mode_32 3
		.amdhsa_float_denorm_mode_16_64 3
		.amdhsa_dx10_clamp 1
		.amdhsa_ieee_mode 1
		.amdhsa_fp16_overflow 0
		.amdhsa_tg_split 0
		.amdhsa_exception_fp_ieee_invalid_op 0
		.amdhsa_exception_fp_denorm_src 0
		.amdhsa_exception_fp_ieee_div_zero 0
		.amdhsa_exception_fp_ieee_overflow 0
		.amdhsa_exception_fp_ieee_underflow 0
		.amdhsa_exception_fp_ieee_inexact 0
		.amdhsa_exception_int_div_zero 0
	.end_amdhsa_kernel
	.section	.text._ZN2at4cuda17kernelHistogram1DIlilLi1ELi2ELin1ELNS0_23CUDAHistogramMemoryTypeE0EZNS0_21CUDA_tensor_histogramIliLb0EEEbNS_6TensorES4_S4_lNS_14AccumulateTypeIT0_Lb1EE4typeES8_NS0_13TensorArgTypeES9_S9_EUllE0_EEvNS0_6detail10TensorInfoIT_T1_EESF_NSC_IKS6_SE_EElS8_S8_SE_T6_,"axG",@progbits,_ZN2at4cuda17kernelHistogram1DIlilLi1ELi2ELin1ELNS0_23CUDAHistogramMemoryTypeE0EZNS0_21CUDA_tensor_histogramIliLb0EEEbNS_6TensorES4_S4_lNS_14AccumulateTypeIT0_Lb1EE4typeES8_NS0_13TensorArgTypeES9_S9_EUllE0_EEvNS0_6detail10TensorInfoIT_T1_EESF_NSC_IKS6_SE_EElS8_S8_SE_T6_,comdat
.Lfunc_end30:
	.size	_ZN2at4cuda17kernelHistogram1DIlilLi1ELi2ELin1ELNS0_23CUDAHistogramMemoryTypeE0EZNS0_21CUDA_tensor_histogramIliLb0EEEbNS_6TensorES4_S4_lNS_14AccumulateTypeIT0_Lb1EE4typeES8_NS0_13TensorArgTypeES9_S9_EUllE0_EEvNS0_6detail10TensorInfoIT_T1_EESF_NSC_IKS6_SE_EElS8_S8_SE_T6_, .Lfunc_end30-_ZN2at4cuda17kernelHistogram1DIlilLi1ELi2ELin1ELNS0_23CUDAHistogramMemoryTypeE0EZNS0_21CUDA_tensor_histogramIliLb0EEEbNS_6TensorES4_S4_lNS_14AccumulateTypeIT0_Lb1EE4typeES8_NS0_13TensorArgTypeES9_S9_EUllE0_EEvNS0_6detail10TensorInfoIT_T1_EESF_NSC_IKS6_SE_EElS8_S8_SE_T6_
                                        ; -- End function
	.section	.AMDGPU.csdata,"",@progbits
; Kernel info:
; codeLenInByte = 2508
; NumSgprs: 49
; NumVgprs: 24
; NumAgprs: 0
; TotalNumVgprs: 24
; ScratchSize: 0
; MemoryBound: 0
; FloatMode: 240
; IeeeMode: 1
; LDSByteSize: 0 bytes/workgroup (compile time only)
; SGPRBlocks: 6
; VGPRBlocks: 2
; NumSGPRsForWavesPerEU: 49
; NumVGPRsForWavesPerEU: 24
; AccumOffset: 24
; Occupancy: 8
; WaveLimiterHint : 1
; COMPUTE_PGM_RSRC2:SCRATCH_EN: 0
; COMPUTE_PGM_RSRC2:USER_SGPR: 6
; COMPUTE_PGM_RSRC2:TRAP_HANDLER: 0
; COMPUTE_PGM_RSRC2:TGID_X_EN: 1
; COMPUTE_PGM_RSRC2:TGID_Y_EN: 0
; COMPUTE_PGM_RSRC2:TGID_Z_EN: 0
; COMPUTE_PGM_RSRC2:TIDIG_COMP_CNT: 0
; COMPUTE_PGM_RSRC3_GFX90A:ACCUM_OFFSET: 5
; COMPUTE_PGM_RSRC3_GFX90A:TG_SPLIT: 0
	.section	.text._ZN2at4cuda17kernelHistogram1DIlilLi1ELi2ELin1ELNS0_23CUDAHistogramMemoryTypeE1EZNS0_21CUDA_tensor_histogramIliLb0EEEbNS_6TensorES4_S4_lNS_14AccumulateTypeIT0_Lb1EE4typeES8_NS0_13TensorArgTypeES9_S9_EUllE0_EEvNS0_6detail10TensorInfoIT_T1_EESF_NSC_IKS6_SE_EElS8_S8_SE_T6_,"axG",@progbits,_ZN2at4cuda17kernelHistogram1DIlilLi1ELi2ELin1ELNS0_23CUDAHistogramMemoryTypeE1EZNS0_21CUDA_tensor_histogramIliLb0EEEbNS_6TensorES4_S4_lNS_14AccumulateTypeIT0_Lb1EE4typeES8_NS0_13TensorArgTypeES9_S9_EUllE0_EEvNS0_6detail10TensorInfoIT_T1_EESF_NSC_IKS6_SE_EElS8_S8_SE_T6_,comdat
	.protected	_ZN2at4cuda17kernelHistogram1DIlilLi1ELi2ELin1ELNS0_23CUDAHistogramMemoryTypeE1EZNS0_21CUDA_tensor_histogramIliLb0EEEbNS_6TensorES4_S4_lNS_14AccumulateTypeIT0_Lb1EE4typeES8_NS0_13TensorArgTypeES9_S9_EUllE0_EEvNS0_6detail10TensorInfoIT_T1_EESF_NSC_IKS6_SE_EElS8_S8_SE_T6_ ; -- Begin function _ZN2at4cuda17kernelHistogram1DIlilLi1ELi2ELin1ELNS0_23CUDAHistogramMemoryTypeE1EZNS0_21CUDA_tensor_histogramIliLb0EEEbNS_6TensorES4_S4_lNS_14AccumulateTypeIT0_Lb1EE4typeES8_NS0_13TensorArgTypeES9_S9_EUllE0_EEvNS0_6detail10TensorInfoIT_T1_EESF_NSC_IKS6_SE_EElS8_S8_SE_T6_
	.globl	_ZN2at4cuda17kernelHistogram1DIlilLi1ELi2ELin1ELNS0_23CUDAHistogramMemoryTypeE1EZNS0_21CUDA_tensor_histogramIliLb0EEEbNS_6TensorES4_S4_lNS_14AccumulateTypeIT0_Lb1EE4typeES8_NS0_13TensorArgTypeES9_S9_EUllE0_EEvNS0_6detail10TensorInfoIT_T1_EESF_NSC_IKS6_SE_EElS8_S8_SE_T6_
	.p2align	8
	.type	_ZN2at4cuda17kernelHistogram1DIlilLi1ELi2ELin1ELNS0_23CUDAHistogramMemoryTypeE1EZNS0_21CUDA_tensor_histogramIliLb0EEEbNS_6TensorES4_S4_lNS_14AccumulateTypeIT0_Lb1EE4typeES8_NS0_13TensorArgTypeES9_S9_EUllE0_EEvNS0_6detail10TensorInfoIT_T1_EESF_NSC_IKS6_SE_EElS8_S8_SE_T6_,@function
_ZN2at4cuda17kernelHistogram1DIlilLi1ELi2ELin1ELNS0_23CUDAHistogramMemoryTypeE1EZNS0_21CUDA_tensor_histogramIliLb0EEEbNS_6TensorES4_S4_lNS_14AccumulateTypeIT0_Lb1EE4typeES8_NS0_13TensorArgTypeES9_S9_EUllE0_EEvNS0_6detail10TensorInfoIT_T1_EESF_NSC_IKS6_SE_EElS8_S8_SE_T6_: ; @_ZN2at4cuda17kernelHistogram1DIlilLi1ELi2ELin1ELNS0_23CUDAHistogramMemoryTypeE1EZNS0_21CUDA_tensor_histogramIliLb0EEEbNS_6TensorES4_S4_lNS_14AccumulateTypeIT0_Lb1EE4typeES8_NS0_13TensorArgTypeES9_S9_EUllE0_EEvNS0_6detail10TensorInfoIT_T1_EESF_NSC_IKS6_SE_EElS8_S8_SE_T6_
; %bb.0:
	s_load_dword s2, s[4:5], 0x514
	s_load_dwordx8 s[8:15], s[4:5], 0x4e0
	s_add_u32 s0, s4, 0x508
	s_addc_u32 s1, s5, 0
	v_mov_b32_e32 v2, 0
	s_waitcnt lgkmcnt(0)
	s_and_b32 s2, s2, 0xffff
	s_mul_i32 s6, s6, s2
	v_add_u32_e32 v0, s6, v0
	v_mov_b32_e32 v1, v2
	v_cmp_gt_i64_e32 vcc, s[14:15], v[0:1]
	s_and_saveexec_b64 s[6:7], vcc
	s_cbranch_execz .LBB31_16
; %bb.1:
	s_load_dword s3, s[4:5], 0x4d8
	s_load_dwordx2 s[6:7], s[4:5], 0x0
	s_load_dwordx2 s[16:17], s[4:5], 0xd0
	s_load_dword s24, s[0:1], 0x0
	s_add_u32 s22, s4, 0x340
	s_addc_u32 s23, s5, 0
	s_mov_b32 s38, 0
	s_waitcnt lgkmcnt(0)
	s_cmp_gt_i32 s3, 1
	s_cselect_b64 s[0:1], -1, 0
	s_sub_u32 s33, s12, s10
	s_subb_u32 s36, s13, s11
	s_mul_i32 s37, s24, s2
	s_add_i32 s39, s3, 1
	s_add_i32 s2, s3, -1
	s_mov_b32 s3, s38
	s_load_dwordx2 s[18:19], s[4:5], 0x410
	s_load_dwordx2 s[20:21], s[4:5], 0x340
	s_lshl_b64 s[2:3], s[2:3], 3
	s_add_u32 s2, s2, s22
	s_addc_u32 s3, s3, s23
	s_add_u32 s4, s2, 8
	v_cndmask_b32_e64 v3, 0, 1, s[0:1]
	s_addc_u32 s5, s3, 0
	s_mov_b64 s[22:23], 0
	v_cmp_ne_u32_e64 s[0:1], 1, v3
	s_branch .LBB31_4
.LBB31_2:                               ;   in Loop: Header=BB31_4 Depth=1
	s_or_b64 exec, exec, s[2:3]
	v_ashrrev_i32_e32 v7, 31, v6
	v_cmp_eq_u64_e32 vcc, s[8:9], v[6:7]
	v_cndmask_b32_e64 v3, 0, 1, vcc
	v_sub_co_u32_e32 v3, vcc, v6, v3
	v_subbrev_co_u32_e32 v4, vcc, 0, v7, vcc
	v_mul_lo_u32 v6, v4, s16
	v_mul_lo_u32 v7, v3, s17
	v_mad_u64_u32 v[4:5], s[2:3], v3, s16, 0
	v_add3_u32 v5, v5, v7, v6
	v_lshlrev_b64 v[4:5], 3, v[4:5]
	v_mov_b32_e32 v3, s7
	v_add_co_u32_e32 v4, vcc, s6, v4
	v_mov_b32_e32 v6, 1
	v_addc_co_u32_e32 v5, vcc, v3, v5, vcc
	v_mov_b32_e32 v7, 0
	global_atomic_add_x2 v[4:5], v[6:7], off
.LBB31_3:                               ;   in Loop: Header=BB31_4 Depth=1
	s_or_b64 exec, exec, s[24:25]
	v_mov_b32_e32 v3, s38
	v_add_co_u32_e32 v0, vcc, s37, v0
	v_addc_co_u32_e32 v1, vcc, v1, v3, vcc
	v_cmp_le_i64_e32 vcc, s[14:15], v[0:1]
	s_or_b64 s[22:23], vcc, s[22:23]
	s_andn2_b64 exec, exec, s[22:23]
	s_cbranch_execz .LBB31_16
.LBB31_4:                               ; =>This Loop Header: Depth=1
                                        ;     Child Loop BB31_5 Depth 2
	s_and_b64 vcc, exec, s[0:1]
	v_pk_mov_b32 v[4:5], 0, 0
	s_mov_b64 s[24:25], s[4:5]
	s_mov_b32 s40, s39
	v_pk_mov_b32 v[6:7], v[0:1], v[0:1] op_sel:[0,1]
	v_pk_mov_b32 v[8:9], v[0:1], v[0:1] op_sel:[0,1]
	s_cbranch_vccnz .LBB31_11
.LBB31_5:                               ;   Parent Loop BB31_4 Depth=1
                                        ; =>  This Inner Loop Header: Depth=2
	s_load_dwordx2 s[26:27], s[24:25], 0x0
                                        ; implicit-def: $vgpr8_vgpr9
	s_waitcnt lgkmcnt(0)
	v_or_b32_e32 v3, s27, v7
	v_cmp_ne_u64_e32 vcc, 0, v[2:3]
	s_and_saveexec_b64 s[2:3], vcc
	s_xor_b64 s[28:29], exec, s[2:3]
	s_cbranch_execz .LBB31_7
; %bb.6:                                ;   in Loop: Header=BB31_5 Depth=2
	s_ashr_i32 s30, s27, 31
	s_add_u32 s2, s26, s30
	s_mov_b32 s31, s30
	s_addc_u32 s3, s27, s30
	s_xor_b64 s[34:35], s[2:3], s[30:31]
	v_cvt_f32_u32_e32 v3, s34
	v_cvt_f32_u32_e32 v8, s35
	s_sub_u32 s2, 0, s34
	s_subb_u32 s3, 0, s35
	v_mac_f32_e32 v3, 0x4f800000, v8
	v_rcp_f32_e32 v3, v3
	v_mul_f32_e32 v3, 0x5f7ffffc, v3
	v_mul_f32_e32 v8, 0x2f800000, v3
	v_trunc_f32_e32 v8, v8
	v_mac_f32_e32 v3, 0xcf800000, v8
	v_cvt_u32_f32_e32 v8, v8
	v_cvt_u32_f32_e32 v3, v3
	v_mul_lo_u32 v9, s2, v8
	v_mul_hi_u32 v11, s2, v3
	v_mul_lo_u32 v10, s3, v3
	v_add_u32_e32 v9, v11, v9
	v_mul_lo_u32 v12, s2, v3
	v_add_u32_e32 v9, v9, v10
	v_mul_lo_u32 v11, v3, v9
	v_mul_hi_u32 v13, v3, v12
	v_mul_hi_u32 v10, v3, v9
	v_add_co_u32_e32 v11, vcc, v13, v11
	v_addc_co_u32_e32 v10, vcc, 0, v10, vcc
	v_mul_hi_u32 v14, v8, v12
	v_mul_lo_u32 v12, v8, v12
	v_add_co_u32_e32 v11, vcc, v11, v12
	v_mul_hi_u32 v13, v8, v9
	v_addc_co_u32_e32 v10, vcc, v10, v14, vcc
	v_addc_co_u32_e32 v11, vcc, 0, v13, vcc
	v_mul_lo_u32 v9, v8, v9
	v_add_co_u32_e32 v9, vcc, v10, v9
	v_addc_co_u32_e32 v10, vcc, 0, v11, vcc
	v_add_co_u32_e32 v3, vcc, v3, v9
	v_addc_co_u32_e32 v8, vcc, v8, v10, vcc
	v_mul_lo_u32 v9, s2, v8
	v_mul_hi_u32 v10, s2, v3
	v_add_u32_e32 v9, v10, v9
	v_mul_lo_u32 v10, s3, v3
	v_add_u32_e32 v9, v9, v10
	v_mul_lo_u32 v11, s2, v3
	v_mul_hi_u32 v12, v8, v11
	v_mul_lo_u32 v13, v8, v11
	v_mul_lo_u32 v15, v3, v9
	v_mul_hi_u32 v11, v3, v11
	v_mul_hi_u32 v14, v3, v9
	v_add_co_u32_e32 v11, vcc, v11, v15
	v_addc_co_u32_e32 v14, vcc, 0, v14, vcc
	v_add_co_u32_e32 v11, vcc, v11, v13
	v_mul_hi_u32 v10, v8, v9
	v_addc_co_u32_e32 v11, vcc, v14, v12, vcc
	v_addc_co_u32_e32 v10, vcc, 0, v10, vcc
	v_mul_lo_u32 v9, v8, v9
	v_add_co_u32_e32 v9, vcc, v11, v9
	v_addc_co_u32_e32 v10, vcc, 0, v10, vcc
	v_add_co_u32_e32 v3, vcc, v3, v9
	v_addc_co_u32_e32 v10, vcc, v8, v10, vcc
	v_ashrrev_i32_e32 v12, 31, v7
	v_add_co_u32_e32 v8, vcc, v6, v12
	v_addc_co_u32_e32 v9, vcc, v7, v12, vcc
	v_xor_b32_e32 v14, v8, v12
	v_xor_b32_e32 v13, v9, v12
	v_mad_u64_u32 v[8:9], s[2:3], v14, v10, 0
	v_mul_hi_u32 v11, v14, v3
	v_add_co_u32_e32 v15, vcc, v11, v8
	v_addc_co_u32_e32 v16, vcc, 0, v9, vcc
	v_mad_u64_u32 v[8:9], s[2:3], v13, v10, 0
	v_mad_u64_u32 v[10:11], s[2:3], v13, v3, 0
	v_add_co_u32_e32 v3, vcc, v15, v10
	v_addc_co_u32_e32 v3, vcc, v16, v11, vcc
	v_addc_co_u32_e32 v9, vcc, 0, v9, vcc
	v_add_co_u32_e32 v3, vcc, v3, v8
	v_addc_co_u32_e32 v10, vcc, 0, v9, vcc
	v_mul_lo_u32 v11, s35, v3
	v_mul_lo_u32 v15, s34, v10
	v_mad_u64_u32 v[8:9], s[2:3], s34, v3, 0
	v_add3_u32 v9, v9, v15, v11
	v_sub_u32_e32 v11, v13, v9
	v_mov_b32_e32 v15, s35
	v_sub_co_u32_e32 v8, vcc, v14, v8
	v_subb_co_u32_e64 v11, s[2:3], v11, v15, vcc
	v_subrev_co_u32_e64 v14, s[2:3], s34, v8
	v_subbrev_co_u32_e64 v11, s[2:3], 0, v11, s[2:3]
	v_cmp_le_u32_e64 s[2:3], s35, v11
	v_cndmask_b32_e64 v15, 0, -1, s[2:3]
	v_cmp_le_u32_e64 s[2:3], s34, v14
	v_cndmask_b32_e64 v14, 0, -1, s[2:3]
	v_cmp_eq_u32_e64 s[2:3], s35, v11
	v_cndmask_b32_e64 v11, v15, v14, s[2:3]
	v_add_co_u32_e64 v14, s[2:3], 2, v3
	v_subb_co_u32_e32 v9, vcc, v13, v9, vcc
	v_addc_co_u32_e64 v15, s[2:3], 0, v10, s[2:3]
	v_cmp_le_u32_e32 vcc, s35, v9
	v_add_co_u32_e64 v16, s[2:3], 1, v3
	v_cndmask_b32_e64 v13, 0, -1, vcc
	v_cmp_le_u32_e32 vcc, s34, v8
	v_addc_co_u32_e64 v17, s[2:3], 0, v10, s[2:3]
	v_cndmask_b32_e64 v8, 0, -1, vcc
	v_cmp_eq_u32_e32 vcc, s35, v9
	v_cmp_ne_u32_e64 s[2:3], 0, v11
	v_cndmask_b32_e32 v8, v13, v8, vcc
	v_cmp_ne_u32_e32 vcc, 0, v8
	v_cndmask_b32_e64 v9, v16, v14, s[2:3]
	v_cndmask_b32_e64 v11, v17, v15, s[2:3]
	v_cndmask_b32_e32 v3, v3, v9, vcc
	v_xor_b32_e32 v9, s30, v12
	v_cndmask_b32_e32 v8, v10, v11, vcc
	v_xor_b32_e32 v3, v3, v9
	v_xor_b32_e32 v10, v8, v9
	v_sub_co_u32_e32 v8, vcc, v3, v9
	v_subb_co_u32_e32 v9, vcc, v10, v9, vcc
.LBB31_7:                               ;   in Loop: Header=BB31_5 Depth=2
	s_andn2_saveexec_b64 s[2:3], s[28:29]
	s_cbranch_execz .LBB31_9
; %bb.8:                                ;   in Loop: Header=BB31_5 Depth=2
	v_cvt_f32_u32_e32 v3, s26
	s_sub_i32 s28, 0, s26
	v_rcp_iflag_f32_e32 v3, v3
	v_mul_f32_e32 v3, 0x4f7ffffe, v3
	v_cvt_u32_f32_e32 v3, v3
	v_mul_lo_u32 v8, s28, v3
	v_mul_hi_u32 v8, v3, v8
	v_add_u32_e32 v3, v3, v8
	v_mul_hi_u32 v3, v6, v3
	v_mul_lo_u32 v8, v3, s26
	v_sub_u32_e32 v8, v6, v8
	v_add_u32_e32 v9, 1, v3
	v_subrev_u32_e32 v10, s26, v8
	v_cmp_le_u32_e32 vcc, s26, v8
	v_cndmask_b32_e32 v8, v8, v10, vcc
	v_cndmask_b32_e32 v3, v3, v9, vcc
	v_add_u32_e32 v9, 1, v3
	v_cmp_le_u32_e32 vcc, s26, v8
	v_cndmask_b32_e32 v8, v3, v9, vcc
	v_mov_b32_e32 v9, v2
.LBB31_9:                               ;   in Loop: Header=BB31_5 Depth=2
	s_or_b64 exec, exec, s[2:3]
	v_mad_u64_u32 v[10:11], s[2:3], v8, s26, 0
	s_load_dwordx2 s[2:3], s[24:25], 0xc8
	v_mul_lo_u32 v3, v9, s26
	v_mul_lo_u32 v12, v8, s27
	v_add3_u32 v3, v11, v12, v3
	v_sub_co_u32_e32 v6, vcc, v6, v10
	s_add_i32 s40, s40, -1
	v_subb_co_u32_e32 v3, vcc, v7, v3, vcc
	s_add_u32 s24, s24, -8
	s_waitcnt lgkmcnt(0)
	v_mul_lo_u32 v3, s2, v3
	v_mul_lo_u32 v7, s3, v6
	v_mad_u64_u32 v[4:5], s[2:3], s2, v6, v[4:5]
	s_addc_u32 s25, s25, -1
	s_cmp_gt_u32 s40, 2
	v_add3_u32 v5, v7, v5, v3
	s_cbranch_scc0 .LBB31_11
; %bb.10:                               ;   in Loop: Header=BB31_5 Depth=2
	v_pk_mov_b32 v[6:7], v[8:9], v[8:9] op_sel:[0,1]
	s_branch .LBB31_5
.LBB31_11:                              ;   in Loop: Header=BB31_4 Depth=1
	s_waitcnt lgkmcnt(0)
	v_mul_lo_u32 v3, s19, v8
	v_mul_lo_u32 v9, s18, v9
	v_mad_u64_u32 v[6:7], s[2:3], s18, v8, 0
	v_add3_u32 v7, v7, v9, v3
	v_lshlrev_b64 v[6:7], 2, v[6:7]
	v_mov_b32_e32 v3, s21
	v_add_co_u32_e32 v6, vcc, s20, v6
	v_addc_co_u32_e32 v3, vcc, v3, v7, vcc
	v_lshlrev_b64 v[4:5], 2, v[4:5]
	v_add_co_u32_e32 v4, vcc, v6, v4
	v_addc_co_u32_e32 v5, vcc, v3, v5, vcc
	global_load_dword v4, v[4:5], off
	s_waitcnt vmcnt(0)
	v_ashrrev_i32_e32 v5, 31, v4
	v_cmp_le_i64_e32 vcc, s[10:11], v[4:5]
	v_cmp_ge_i64_e64 s[2:3], s[12:13], v[4:5]
	s_and_b64 s[2:3], vcc, s[2:3]
	s_and_saveexec_b64 s[24:25], s[2:3]
	s_cbranch_execz .LBB31_3
; %bb.12:                               ;   in Loop: Header=BB31_4 Depth=1
	v_mov_b32_e32 v3, s11
	v_subrev_co_u32_e32 v4, vcc, s10, v4
	v_subb_co_u32_e32 v3, vcc, v5, v3, vcc
	v_mul_lo_u32 v3, v3, s8
	v_mul_lo_u32 v6, v4, s9
	v_mad_u64_u32 v[4:5], s[2:3], v4, s8, 0
	v_add3_u32 v5, v5, v6, v3
	v_or_b32_e32 v3, s36, v5
	v_cmp_ne_u64_e32 vcc, 0, v[2:3]
                                        ; implicit-def: $vgpr6_vgpr7
	s_and_saveexec_b64 s[2:3], vcc
	s_xor_b64 s[26:27], exec, s[2:3]
	s_cbranch_execz .LBB31_14
; %bb.13:                               ;   in Loop: Header=BB31_4 Depth=1
	s_ashr_i32 s28, s36, 31
	s_add_u32 s2, s33, s28
	s_mov_b32 s29, s28
	s_addc_u32 s3, s36, s28
	s_xor_b64 s[30:31], s[2:3], s[28:29]
	v_cvt_f32_u32_e32 v3, s30
	v_cvt_f32_u32_e32 v6, s31
	s_sub_u32 s2, 0, s30
	s_subb_u32 s3, 0, s31
	v_mac_f32_e32 v3, 0x4f800000, v6
	v_rcp_f32_e32 v3, v3
	v_mul_f32_e32 v3, 0x5f7ffffc, v3
	v_mul_f32_e32 v6, 0x2f800000, v3
	v_trunc_f32_e32 v6, v6
	v_mac_f32_e32 v3, 0xcf800000, v6
	v_cvt_u32_f32_e32 v6, v6
	v_cvt_u32_f32_e32 v3, v3
	v_mul_lo_u32 v7, s2, v6
	v_mul_hi_u32 v9, s2, v3
	v_mul_lo_u32 v8, s3, v3
	v_add_u32_e32 v7, v9, v7
	v_mul_lo_u32 v10, s2, v3
	v_add_u32_e32 v7, v7, v8
	v_mul_lo_u32 v9, v3, v7
	v_mul_hi_u32 v11, v3, v10
	v_mul_hi_u32 v8, v3, v7
	v_add_co_u32_e32 v9, vcc, v11, v9
	v_addc_co_u32_e32 v8, vcc, 0, v8, vcc
	v_mul_hi_u32 v12, v6, v10
	v_mul_lo_u32 v10, v6, v10
	v_add_co_u32_e32 v9, vcc, v9, v10
	v_mul_hi_u32 v11, v6, v7
	v_addc_co_u32_e32 v8, vcc, v8, v12, vcc
	v_addc_co_u32_e32 v9, vcc, 0, v11, vcc
	v_mul_lo_u32 v7, v6, v7
	v_add_co_u32_e32 v7, vcc, v8, v7
	v_addc_co_u32_e32 v8, vcc, 0, v9, vcc
	v_add_co_u32_e32 v3, vcc, v3, v7
	v_addc_co_u32_e32 v6, vcc, v6, v8, vcc
	v_mul_lo_u32 v7, s2, v6
	v_mul_hi_u32 v8, s2, v3
	v_add_u32_e32 v7, v8, v7
	v_mul_lo_u32 v8, s3, v3
	v_add_u32_e32 v7, v7, v8
	v_mul_lo_u32 v9, s2, v3
	v_mul_hi_u32 v10, v6, v9
	v_mul_lo_u32 v11, v6, v9
	v_mul_lo_u32 v13, v3, v7
	v_mul_hi_u32 v9, v3, v9
	v_mul_hi_u32 v12, v3, v7
	v_add_co_u32_e32 v9, vcc, v9, v13
	v_addc_co_u32_e32 v12, vcc, 0, v12, vcc
	v_add_co_u32_e32 v9, vcc, v9, v11
	v_mul_hi_u32 v8, v6, v7
	v_addc_co_u32_e32 v9, vcc, v12, v10, vcc
	v_addc_co_u32_e32 v8, vcc, 0, v8, vcc
	v_mul_lo_u32 v7, v6, v7
	v_add_co_u32_e32 v7, vcc, v9, v7
	v_addc_co_u32_e32 v8, vcc, 0, v8, vcc
	v_add_co_u32_e32 v3, vcc, v3, v7
	v_addc_co_u32_e32 v6, vcc, v6, v8, vcc
	v_ashrrev_i32_e32 v8, 31, v5
	v_add_co_u32_e32 v4, vcc, v4, v8
	v_addc_co_u32_e32 v5, vcc, v5, v8, vcc
	v_xor_b32_e32 v10, v4, v8
	v_xor_b32_e32 v9, v5, v8
	v_mad_u64_u32 v[4:5], s[2:3], v10, v6, 0
	v_mul_hi_u32 v7, v10, v3
	v_add_co_u32_e32 v11, vcc, v7, v4
	v_addc_co_u32_e32 v12, vcc, 0, v5, vcc
	v_mad_u64_u32 v[4:5], s[2:3], v9, v6, 0
	v_mad_u64_u32 v[6:7], s[2:3], v9, v3, 0
	v_add_co_u32_e32 v3, vcc, v11, v6
	v_addc_co_u32_e32 v3, vcc, v12, v7, vcc
	v_addc_co_u32_e32 v5, vcc, 0, v5, vcc
	v_add_co_u32_e32 v3, vcc, v3, v4
	v_addc_co_u32_e32 v4, vcc, 0, v5, vcc
	v_mul_lo_u32 v6, s31, v3
	v_mul_lo_u32 v7, s30, v4
	v_mad_u64_u32 v[4:5], s[2:3], s30, v3, 0
	v_add3_u32 v5, v5, v7, v6
	v_sub_u32_e32 v6, v9, v5
	v_mov_b32_e32 v7, s31
	v_sub_co_u32_e32 v4, vcc, v10, v4
	v_subb_co_u32_e64 v6, s[2:3], v6, v7, vcc
	v_subrev_co_u32_e64 v7, s[2:3], s30, v4
	v_subbrev_co_u32_e64 v6, s[2:3], 0, v6, s[2:3]
	v_cmp_le_u32_e64 s[2:3], s31, v6
	v_subb_co_u32_e32 v5, vcc, v9, v5, vcc
	v_cndmask_b32_e64 v10, 0, -1, s[2:3]
	v_cmp_le_u32_e64 s[2:3], s30, v7
	v_cmp_le_u32_e32 vcc, s31, v5
	v_cndmask_b32_e64 v7, 0, -1, s[2:3]
	v_cmp_eq_u32_e64 s[2:3], s31, v6
	v_cndmask_b32_e64 v9, 0, -1, vcc
	v_cmp_le_u32_e32 vcc, s30, v4
	v_cndmask_b32_e64 v6, v10, v7, s[2:3]
	v_cndmask_b32_e64 v4, 0, -1, vcc
	v_cmp_eq_u32_e32 vcc, s31, v5
	v_add_co_u32_e64 v7, s[2:3], 2, v3
	v_add_co_u32_e64 v10, s[2:3], 1, v3
	v_cndmask_b32_e32 v4, v9, v4, vcc
	v_cmp_ne_u32_e32 vcc, 0, v6
	v_cndmask_b32_e32 v5, v10, v7, vcc
	v_cmp_ne_u32_e32 vcc, 0, v4
	v_cndmask_b32_e32 v3, v3, v5, vcc
	v_xor_b32_e32 v4, s28, v8
	v_xor_b32_e32 v3, v3, v4
	v_sub_co_u32_e32 v6, vcc, v3, v4
                                        ; implicit-def: $vgpr4_vgpr5
.LBB31_14:                              ;   in Loop: Header=BB31_4 Depth=1
	s_andn2_saveexec_b64 s[2:3], s[26:27]
	s_cbranch_execz .LBB31_2
; %bb.15:                               ;   in Loop: Header=BB31_4 Depth=1
	v_cvt_f32_u32_e32 v3, s33
	s_sub_i32 s26, 0, s33
	v_rcp_iflag_f32_e32 v3, v3
	v_mul_f32_e32 v3, 0x4f7ffffe, v3
	v_cvt_u32_f32_e32 v3, v3
	v_mul_lo_u32 v5, s26, v3
	v_mul_hi_u32 v5, v3, v5
	v_add_u32_e32 v3, v3, v5
	v_mul_hi_u32 v3, v4, v3
	v_mul_lo_u32 v5, v3, s33
	v_sub_u32_e32 v4, v4, v5
	v_add_u32_e32 v6, 1, v3
	v_subrev_u32_e32 v5, s33, v4
	v_cmp_le_u32_e32 vcc, s33, v4
	v_cndmask_b32_e32 v4, v4, v5, vcc
	v_cndmask_b32_e32 v3, v3, v6, vcc
	v_add_u32_e32 v5, 1, v3
	v_cmp_le_u32_e32 vcc, s33, v4
	v_cndmask_b32_e32 v6, v3, v5, vcc
	s_branch .LBB31_2
.LBB31_16:
	s_endpgm
	.section	.rodata,"a",@progbits
	.p2align	6, 0x0
	.amdhsa_kernel _ZN2at4cuda17kernelHistogram1DIlilLi1ELi2ELin1ELNS0_23CUDAHistogramMemoryTypeE1EZNS0_21CUDA_tensor_histogramIliLb0EEEbNS_6TensorES4_S4_lNS_14AccumulateTypeIT0_Lb1EE4typeES8_NS0_13TensorArgTypeES9_S9_EUllE0_EEvNS0_6detail10TensorInfoIT_T1_EESF_NSC_IKS6_SE_EElS8_S8_SE_T6_
		.amdhsa_group_segment_fixed_size 0
		.amdhsa_private_segment_fixed_size 0
		.amdhsa_kernarg_size 1544
		.amdhsa_user_sgpr_count 6
		.amdhsa_user_sgpr_private_segment_buffer 1
		.amdhsa_user_sgpr_dispatch_ptr 0
		.amdhsa_user_sgpr_queue_ptr 0
		.amdhsa_user_sgpr_kernarg_segment_ptr 1
		.amdhsa_user_sgpr_dispatch_id 0
		.amdhsa_user_sgpr_flat_scratch_init 0
		.amdhsa_user_sgpr_kernarg_preload_length 0
		.amdhsa_user_sgpr_kernarg_preload_offset 0
		.amdhsa_user_sgpr_private_segment_size 0
		.amdhsa_uses_dynamic_stack 0
		.amdhsa_system_sgpr_private_segment_wavefront_offset 0
		.amdhsa_system_sgpr_workgroup_id_x 1
		.amdhsa_system_sgpr_workgroup_id_y 0
		.amdhsa_system_sgpr_workgroup_id_z 0
		.amdhsa_system_sgpr_workgroup_info 0
		.amdhsa_system_vgpr_workitem_id 0
		.amdhsa_next_free_vgpr 18
		.amdhsa_next_free_sgpr 41
		.amdhsa_accum_offset 20
		.amdhsa_reserve_vcc 1
		.amdhsa_reserve_flat_scratch 0
		.amdhsa_float_round_mode_32 0
		.amdhsa_float_round_mode_16_64 0
		.amdhsa_float_denorm_mode_32 3
		.amdhsa_float_denorm_mode_16_64 3
		.amdhsa_dx10_clamp 1
		.amdhsa_ieee_mode 1
		.amdhsa_fp16_overflow 0
		.amdhsa_tg_split 0
		.amdhsa_exception_fp_ieee_invalid_op 0
		.amdhsa_exception_fp_denorm_src 0
		.amdhsa_exception_fp_ieee_div_zero 0
		.amdhsa_exception_fp_ieee_overflow 0
		.amdhsa_exception_fp_ieee_underflow 0
		.amdhsa_exception_fp_ieee_inexact 0
		.amdhsa_exception_int_div_zero 0
	.end_amdhsa_kernel
	.section	.text._ZN2at4cuda17kernelHistogram1DIlilLi1ELi2ELin1ELNS0_23CUDAHistogramMemoryTypeE1EZNS0_21CUDA_tensor_histogramIliLb0EEEbNS_6TensorES4_S4_lNS_14AccumulateTypeIT0_Lb1EE4typeES8_NS0_13TensorArgTypeES9_S9_EUllE0_EEvNS0_6detail10TensorInfoIT_T1_EESF_NSC_IKS6_SE_EElS8_S8_SE_T6_,"axG",@progbits,_ZN2at4cuda17kernelHistogram1DIlilLi1ELi2ELin1ELNS0_23CUDAHistogramMemoryTypeE1EZNS0_21CUDA_tensor_histogramIliLb0EEEbNS_6TensorES4_S4_lNS_14AccumulateTypeIT0_Lb1EE4typeES8_NS0_13TensorArgTypeES9_S9_EUllE0_EEvNS0_6detail10TensorInfoIT_T1_EESF_NSC_IKS6_SE_EElS8_S8_SE_T6_,comdat
.Lfunc_end31:
	.size	_ZN2at4cuda17kernelHistogram1DIlilLi1ELi2ELin1ELNS0_23CUDAHistogramMemoryTypeE1EZNS0_21CUDA_tensor_histogramIliLb0EEEbNS_6TensorES4_S4_lNS_14AccumulateTypeIT0_Lb1EE4typeES8_NS0_13TensorArgTypeES9_S9_EUllE0_EEvNS0_6detail10TensorInfoIT_T1_EESF_NSC_IKS6_SE_EElS8_S8_SE_T6_, .Lfunc_end31-_ZN2at4cuda17kernelHistogram1DIlilLi1ELi2ELin1ELNS0_23CUDAHistogramMemoryTypeE1EZNS0_21CUDA_tensor_histogramIliLb0EEEbNS_6TensorES4_S4_lNS_14AccumulateTypeIT0_Lb1EE4typeES8_NS0_13TensorArgTypeES9_S9_EUllE0_EEvNS0_6detail10TensorInfoIT_T1_EESF_NSC_IKS6_SE_EElS8_S8_SE_T6_
                                        ; -- End function
	.section	.AMDGPU.csdata,"",@progbits
; Kernel info:
; codeLenInByte = 2220
; NumSgprs: 45
; NumVgprs: 18
; NumAgprs: 0
; TotalNumVgprs: 18
; ScratchSize: 0
; MemoryBound: 0
; FloatMode: 240
; IeeeMode: 1
; LDSByteSize: 0 bytes/workgroup (compile time only)
; SGPRBlocks: 5
; VGPRBlocks: 2
; NumSGPRsForWavesPerEU: 45
; NumVGPRsForWavesPerEU: 18
; AccumOffset: 20
; Occupancy: 8
; WaveLimiterHint : 1
; COMPUTE_PGM_RSRC2:SCRATCH_EN: 0
; COMPUTE_PGM_RSRC2:USER_SGPR: 6
; COMPUTE_PGM_RSRC2:TRAP_HANDLER: 0
; COMPUTE_PGM_RSRC2:TGID_X_EN: 1
; COMPUTE_PGM_RSRC2:TGID_Y_EN: 0
; COMPUTE_PGM_RSRC2:TGID_Z_EN: 0
; COMPUTE_PGM_RSRC2:TIDIG_COMP_CNT: 0
; COMPUTE_PGM_RSRC3_GFX90A:ACCUM_OFFSET: 4
; COMPUTE_PGM_RSRC3_GFX90A:TG_SPLIT: 0
	.section	.text._ZN2at4cuda17kernelHistogram1DIdilLi1ELi2ELin1ELNS0_23CUDAHistogramMemoryTypeE0EZNS0_21CUDA_tensor_histogramIdiLb1EEEbNS_6TensorES4_S4_lNS_14AccumulateTypeIT0_Lb1EE4typeES8_NS0_13TensorArgTypeES9_S9_EUllE_EEvNS0_6detail10TensorInfoIT_T1_EESF_NSC_IKS6_SE_EElS8_S8_SE_T6_,"axG",@progbits,_ZN2at4cuda17kernelHistogram1DIdilLi1ELi2ELin1ELNS0_23CUDAHistogramMemoryTypeE0EZNS0_21CUDA_tensor_histogramIdiLb1EEEbNS_6TensorES4_S4_lNS_14AccumulateTypeIT0_Lb1EE4typeES8_NS0_13TensorArgTypeES9_S9_EUllE_EEvNS0_6detail10TensorInfoIT_T1_EESF_NSC_IKS6_SE_EElS8_S8_SE_T6_,comdat
	.protected	_ZN2at4cuda17kernelHistogram1DIdilLi1ELi2ELin1ELNS0_23CUDAHistogramMemoryTypeE0EZNS0_21CUDA_tensor_histogramIdiLb1EEEbNS_6TensorES4_S4_lNS_14AccumulateTypeIT0_Lb1EE4typeES8_NS0_13TensorArgTypeES9_S9_EUllE_EEvNS0_6detail10TensorInfoIT_T1_EESF_NSC_IKS6_SE_EElS8_S8_SE_T6_ ; -- Begin function _ZN2at4cuda17kernelHistogram1DIdilLi1ELi2ELin1ELNS0_23CUDAHistogramMemoryTypeE0EZNS0_21CUDA_tensor_histogramIdiLb1EEEbNS_6TensorES4_S4_lNS_14AccumulateTypeIT0_Lb1EE4typeES8_NS0_13TensorArgTypeES9_S9_EUllE_EEvNS0_6detail10TensorInfoIT_T1_EESF_NSC_IKS6_SE_EElS8_S8_SE_T6_
	.globl	_ZN2at4cuda17kernelHistogram1DIdilLi1ELi2ELin1ELNS0_23CUDAHistogramMemoryTypeE0EZNS0_21CUDA_tensor_histogramIdiLb1EEEbNS_6TensorES4_S4_lNS_14AccumulateTypeIT0_Lb1EE4typeES8_NS0_13TensorArgTypeES9_S9_EUllE_EEvNS0_6detail10TensorInfoIT_T1_EESF_NSC_IKS6_SE_EElS8_S8_SE_T6_
	.p2align	8
	.type	_ZN2at4cuda17kernelHistogram1DIdilLi1ELi2ELin1ELNS0_23CUDAHistogramMemoryTypeE0EZNS0_21CUDA_tensor_histogramIdiLb1EEEbNS_6TensorES4_S4_lNS_14AccumulateTypeIT0_Lb1EE4typeES8_NS0_13TensorArgTypeES9_S9_EUllE_EEvNS0_6detail10TensorInfoIT_T1_EESF_NSC_IKS6_SE_EElS8_S8_SE_T6_,@function
_ZN2at4cuda17kernelHistogram1DIdilLi1ELi2ELin1ELNS0_23CUDAHistogramMemoryTypeE0EZNS0_21CUDA_tensor_histogramIdiLb1EEEbNS_6TensorES4_S4_lNS_14AccumulateTypeIT0_Lb1EE4typeES8_NS0_13TensorArgTypeES9_S9_EUllE_EEvNS0_6detail10TensorInfoIT_T1_EESF_NSC_IKS6_SE_EElS8_S8_SE_T6_: ; @_ZN2at4cuda17kernelHistogram1DIdilLi1ELi2ELin1ELNS0_23CUDAHistogramMemoryTypeE0EZNS0_21CUDA_tensor_histogramIdiLb1EEEbNS_6TensorES4_S4_lNS_14AccumulateTypeIT0_Lb1EE4typeES8_NS0_13TensorArgTypeES9_S9_EUllE_EEvNS0_6detail10TensorInfoIT_T1_EESF_NSC_IKS6_SE_EElS8_S8_SE_T6_
; %bb.0:
	s_load_dwordx4 s[16:19], s[4:5], 0x0
	s_load_dwordx2 s[20:21], s[4:5], 0x500
	s_load_dwordx8 s[8:15], s[4:5], 0x4e0
	v_mov_b32_e32 v1, 0
	s_add_u32 s2, s4, 0x6a0
	s_waitcnt lgkmcnt(0)
	v_cmp_gt_i64_e64 s[0:1], s[18:19], v[0:1]
	v_cmp_le_i64_e32 vcc, s[18:19], v[0:1]
	s_addc_u32 s3, s5, 0
                                        ; implicit-def: $sgpr7
                                        ; implicit-def: $sgpr28
	s_and_saveexec_b64 s[22:23], vcc
	s_xor_b64 s[22:23], exec, s[22:23]
	s_cbranch_execz .LBB32_2
; %bb.1:
	s_load_dword s7, s[2:3], 0xc
	s_waitcnt lgkmcnt(0)
	s_and_b32 s28, s7, 0xffff
.LBB32_2:
	s_or_saveexec_b64 s[26:27], s[22:23]
	s_load_dwordx2 s[22:23], s[4:5], 0xd0
	s_load_dwordx2 s[24:25], s[4:5], 0x5d0
	v_mov_b32_e32 v7, s7
	v_mov_b32_e32 v15, s28
	v_lshl_add_u32 v14, v0, 3, 0
	s_xor_b64 exec, exec, s[26:27]
	s_cbranch_execz .LBB32_6
; %bb.3:
	s_load_dword s7, s[2:3], 0xc
	s_mov_b32 s33, 0
	v_mov_b32_e32 v2, 0
	v_lshl_add_u32 v6, v0, 3, 0
	s_mov_b64 s[28:29], 0
	s_waitcnt lgkmcnt(0)
	s_and_b32 s30, s7, 0xffff
	s_lshl_b32 s31, s30, 3
	v_mov_b32_e32 v3, v2
	v_mov_b32_e32 v7, s33
	v_pk_mov_b32 v[4:5], v[0:1], v[0:1] op_sel:[0,1]
.LBB32_4:                               ; =>This Inner Loop Header: Depth=1
	v_add_co_u32_e32 v4, vcc, s30, v4
	v_addc_co_u32_e32 v5, vcc, v5, v7, vcc
	v_cmp_le_i64_e32 vcc, s[18:19], v[4:5]
	ds_write_b64 v6, v[2:3]
	s_or_b64 s[28:29], vcc, s[28:29]
	v_add_u32_e32 v6, s31, v6
	s_andn2_b64 exec, exec, s[28:29]
	s_cbranch_execnz .LBB32_4
; %bb.5:
	s_or_b64 exec, exec, s[28:29]
	v_mov_b32_e32 v7, s7
	v_mov_b32_e32 v15, s30
.LBB32_6:
	s_or_b64 exec, exec, s[26:27]
	v_mad_u64_u32 v[2:3], s[6:7], s6, v15, v[0:1]
	v_mov_b32_e32 v4, 0
	v_mov_b32_e32 v3, v4
	v_cmp_gt_i64_e32 vcc, s[14:15], v[2:3]
	s_waitcnt lgkmcnt(0)
	s_barrier
	s_and_saveexec_b64 s[6:7], vcc
	s_cbranch_execz .LBB32_22
; %bb.7:
	s_load_dword s30, s[4:5], 0x4d8
	s_load_dwordx2 s[26:27], s[4:5], 0x410
	s_load_dwordx2 s[28:29], s[4:5], 0x340
	s_add_u32 s31, s4, 0x340
	s_addc_u32 s35, s5, 0
	s_waitcnt lgkmcnt(0)
	s_cmp_gt_i32 s30, 1
	s_load_dword s34, s[2:3], 0x0
	s_cselect_b64 s[2:3], -1, 0
	s_sub_u32 s33, s12, s10
	s_subb_u32 s48, s13, s11
	s_mov_b32 s5, 0
	s_add_i32 s4, s30, -1
	s_add_i32 s49, s30, 1
	s_lshl_b64 s[4:5], s[4:5], 3
	s_add_u32 s4, s4, s31
	s_addc_u32 s5, s5, s35
	s_add_u32 s30, s4, 8
	v_cndmask_b32_e64 v5, 0, 1, s[2:3]
	s_waitcnt lgkmcnt(0)
	v_mul_lo_u32 v6, s34, v15
	s_addc_u32 s31, s5, 0
	s_mov_b64 s[34:35], 0
	v_cmp_ne_u32_e64 s[2:3], 1, v5
	s_mov_b64 s[36:37], src_shared_base
	s_branch .LBB32_10
.LBB32_8:                               ;   in Loop: Header=BB32_10 Depth=1
	s_or_b64 exec, exec, s[4:5]
	v_mul_lo_u32 v5, v3, s24
	v_mul_lo_u32 v11, v2, s25
	v_mad_u64_u32 v[8:9], s[4:5], v2, s24, 0
	v_add3_u32 v9, v9, v11, v5
	v_lshlrev_b64 v[8:9], 3, v[8:9]
	v_mov_b32_e32 v5, s21
	v_add_co_u32_e32 v8, vcc, s20, v8
	v_addc_co_u32_e32 v9, vcc, v5, v9, vcc
	global_load_dwordx2 v[8:9], v[8:9], off
	v_ashrrev_i32_e32 v11, 31, v10
	v_cmp_eq_u64_e32 vcc, s[8:9], v[10:11]
	v_subbrev_co_u32_e32 v5, vcc, 0, v10, vcc
	v_lshl_add_u32 v10, v5, 3, 0
	v_mov_b32_e32 v11, s37
	s_waitcnt vmcnt(0)
	flat_atomic_add_f64 v[10:11], v[8:9]
.LBB32_9:                               ;   in Loop: Header=BB32_10 Depth=1
	s_or_b64 exec, exec, s[38:39]
	v_add_co_u32_e32 v2, vcc, v2, v6
	v_addc_co_u32_e32 v3, vcc, 0, v3, vcc
	v_cmp_le_i64_e32 vcc, s[14:15], v[2:3]
	s_or_b64 s[34:35], vcc, s[34:35]
	s_andn2_b64 exec, exec, s[34:35]
	s_cbranch_execz .LBB32_22
.LBB32_10:                              ; =>This Loop Header: Depth=1
                                        ;     Child Loop BB32_11 Depth 2
	s_and_b64 vcc, exec, s[2:3]
	v_pk_mov_b32 v[8:9], 0, 0
	s_mov_b64 s[38:39], s[30:31]
	s_mov_b32 s36, s49
	v_pk_mov_b32 v[10:11], v[2:3], v[2:3] op_sel:[0,1]
	v_pk_mov_b32 v[12:13], v[2:3], v[2:3] op_sel:[0,1]
	s_cbranch_vccnz .LBB32_17
.LBB32_11:                              ;   Parent Loop BB32_10 Depth=1
                                        ; =>  This Inner Loop Header: Depth=2
	s_load_dwordx2 s[40:41], s[38:39], 0x0
                                        ; implicit-def: $vgpr12_vgpr13
	s_waitcnt lgkmcnt(0)
	v_or_b32_e32 v5, s41, v11
	v_cmp_ne_u64_e32 vcc, 0, v[4:5]
	s_and_saveexec_b64 s[4:5], vcc
	s_xor_b64 s[42:43], exec, s[4:5]
	s_cbranch_execz .LBB32_13
; %bb.12:                               ;   in Loop: Header=BB32_11 Depth=2
	s_ashr_i32 s44, s41, 31
	s_add_u32 s4, s40, s44
	s_mov_b32 s45, s44
	s_addc_u32 s5, s41, s44
	s_xor_b64 s[46:47], s[4:5], s[44:45]
	v_cvt_f32_u32_e32 v5, s46
	v_cvt_f32_u32_e32 v12, s47
	s_sub_u32 s4, 0, s46
	s_subb_u32 s5, 0, s47
	v_mac_f32_e32 v5, 0x4f800000, v12
	v_rcp_f32_e32 v5, v5
	v_mul_f32_e32 v5, 0x5f7ffffc, v5
	v_mul_f32_e32 v12, 0x2f800000, v5
	v_trunc_f32_e32 v12, v12
	v_mac_f32_e32 v5, 0xcf800000, v12
	v_cvt_u32_f32_e32 v12, v12
	v_cvt_u32_f32_e32 v5, v5
	v_mul_lo_u32 v13, s4, v12
	v_mul_hi_u32 v17, s4, v5
	v_mul_lo_u32 v16, s5, v5
	v_add_u32_e32 v13, v17, v13
	v_mul_lo_u32 v18, s4, v5
	v_add_u32_e32 v13, v13, v16
	v_mul_lo_u32 v17, v5, v13
	v_mul_hi_u32 v19, v5, v18
	v_mul_hi_u32 v16, v5, v13
	v_add_co_u32_e32 v17, vcc, v19, v17
	v_addc_co_u32_e32 v16, vcc, 0, v16, vcc
	v_mul_hi_u32 v20, v12, v18
	v_mul_lo_u32 v18, v12, v18
	v_add_co_u32_e32 v17, vcc, v17, v18
	v_mul_hi_u32 v19, v12, v13
	v_addc_co_u32_e32 v16, vcc, v16, v20, vcc
	v_addc_co_u32_e32 v17, vcc, 0, v19, vcc
	v_mul_lo_u32 v13, v12, v13
	v_add_co_u32_e32 v13, vcc, v16, v13
	v_addc_co_u32_e32 v16, vcc, 0, v17, vcc
	v_add_co_u32_e32 v5, vcc, v5, v13
	v_addc_co_u32_e32 v12, vcc, v12, v16, vcc
	v_mul_lo_u32 v13, s4, v12
	v_mul_hi_u32 v16, s4, v5
	v_add_u32_e32 v13, v16, v13
	v_mul_lo_u32 v16, s5, v5
	v_add_u32_e32 v13, v13, v16
	v_mul_lo_u32 v17, s4, v5
	v_mul_hi_u32 v18, v12, v17
	v_mul_lo_u32 v19, v12, v17
	v_mul_lo_u32 v21, v5, v13
	v_mul_hi_u32 v17, v5, v17
	v_mul_hi_u32 v20, v5, v13
	v_add_co_u32_e32 v17, vcc, v17, v21
	v_addc_co_u32_e32 v20, vcc, 0, v20, vcc
	v_add_co_u32_e32 v17, vcc, v17, v19
	v_mul_hi_u32 v16, v12, v13
	v_addc_co_u32_e32 v17, vcc, v20, v18, vcc
	v_addc_co_u32_e32 v16, vcc, 0, v16, vcc
	v_mul_lo_u32 v13, v12, v13
	v_add_co_u32_e32 v13, vcc, v17, v13
	v_addc_co_u32_e32 v16, vcc, 0, v16, vcc
	v_add_co_u32_e32 v5, vcc, v5, v13
	v_addc_co_u32_e32 v16, vcc, v12, v16, vcc
	v_ashrrev_i32_e32 v18, 31, v11
	v_add_co_u32_e32 v12, vcc, v10, v18
	v_addc_co_u32_e32 v13, vcc, v11, v18, vcc
	v_xor_b32_e32 v20, v12, v18
	v_xor_b32_e32 v19, v13, v18
	v_mad_u64_u32 v[12:13], s[4:5], v20, v16, 0
	v_mul_hi_u32 v17, v20, v5
	v_add_co_u32_e32 v21, vcc, v17, v12
	v_addc_co_u32_e32 v22, vcc, 0, v13, vcc
	v_mad_u64_u32 v[12:13], s[4:5], v19, v16, 0
	v_mad_u64_u32 v[16:17], s[4:5], v19, v5, 0
	v_add_co_u32_e32 v5, vcc, v21, v16
	v_addc_co_u32_e32 v5, vcc, v22, v17, vcc
	v_addc_co_u32_e32 v13, vcc, 0, v13, vcc
	v_add_co_u32_e32 v5, vcc, v5, v12
	v_addc_co_u32_e32 v16, vcc, 0, v13, vcc
	v_mul_lo_u32 v17, s47, v5
	v_mul_lo_u32 v21, s46, v16
	v_mad_u64_u32 v[12:13], s[4:5], s46, v5, 0
	v_add3_u32 v13, v13, v21, v17
	v_sub_u32_e32 v17, v19, v13
	v_mov_b32_e32 v21, s47
	v_sub_co_u32_e32 v12, vcc, v20, v12
	v_subb_co_u32_e64 v17, s[4:5], v17, v21, vcc
	v_subrev_co_u32_e64 v20, s[4:5], s46, v12
	v_subbrev_co_u32_e64 v17, s[4:5], 0, v17, s[4:5]
	v_cmp_le_u32_e64 s[4:5], s47, v17
	v_cndmask_b32_e64 v21, 0, -1, s[4:5]
	v_cmp_le_u32_e64 s[4:5], s46, v20
	v_cndmask_b32_e64 v20, 0, -1, s[4:5]
	v_cmp_eq_u32_e64 s[4:5], s47, v17
	v_cndmask_b32_e64 v17, v21, v20, s[4:5]
	v_add_co_u32_e64 v20, s[4:5], 2, v5
	v_subb_co_u32_e32 v13, vcc, v19, v13, vcc
	v_addc_co_u32_e64 v21, s[4:5], 0, v16, s[4:5]
	v_cmp_le_u32_e32 vcc, s47, v13
	v_add_co_u32_e64 v22, s[4:5], 1, v5
	v_cndmask_b32_e64 v19, 0, -1, vcc
	v_cmp_le_u32_e32 vcc, s46, v12
	v_addc_co_u32_e64 v23, s[4:5], 0, v16, s[4:5]
	v_cndmask_b32_e64 v12, 0, -1, vcc
	v_cmp_eq_u32_e32 vcc, s47, v13
	v_cmp_ne_u32_e64 s[4:5], 0, v17
	v_cndmask_b32_e32 v12, v19, v12, vcc
	v_cmp_ne_u32_e32 vcc, 0, v12
	v_cndmask_b32_e64 v13, v22, v20, s[4:5]
	v_cndmask_b32_e64 v17, v23, v21, s[4:5]
	v_cndmask_b32_e32 v5, v5, v13, vcc
	v_xor_b32_e32 v13, s44, v18
	v_cndmask_b32_e32 v12, v16, v17, vcc
	v_xor_b32_e32 v5, v5, v13
	v_xor_b32_e32 v16, v12, v13
	v_sub_co_u32_e32 v12, vcc, v5, v13
	v_subb_co_u32_e32 v13, vcc, v16, v13, vcc
.LBB32_13:                              ;   in Loop: Header=BB32_11 Depth=2
	s_andn2_saveexec_b64 s[4:5], s[42:43]
	s_cbranch_execz .LBB32_15
; %bb.14:                               ;   in Loop: Header=BB32_11 Depth=2
	v_cvt_f32_u32_e32 v5, s40
	s_sub_i32 s42, 0, s40
	v_rcp_iflag_f32_e32 v5, v5
	v_mul_f32_e32 v5, 0x4f7ffffe, v5
	v_cvt_u32_f32_e32 v5, v5
	v_mul_lo_u32 v12, s42, v5
	v_mul_hi_u32 v12, v5, v12
	v_add_u32_e32 v5, v5, v12
	v_mul_hi_u32 v5, v10, v5
	v_mul_lo_u32 v12, v5, s40
	v_sub_u32_e32 v12, v10, v12
	v_add_u32_e32 v13, 1, v5
	v_subrev_u32_e32 v16, s40, v12
	v_cmp_le_u32_e32 vcc, s40, v12
	v_cndmask_b32_e32 v12, v12, v16, vcc
	v_cndmask_b32_e32 v5, v5, v13, vcc
	v_add_u32_e32 v13, 1, v5
	v_cmp_le_u32_e32 vcc, s40, v12
	v_cndmask_b32_e32 v12, v5, v13, vcc
	v_mov_b32_e32 v13, v4
.LBB32_15:                              ;   in Loop: Header=BB32_11 Depth=2
	s_or_b64 exec, exec, s[4:5]
	v_mad_u64_u32 v[16:17], s[4:5], v12, s40, 0
	s_load_dwordx2 s[4:5], s[38:39], 0xc8
	v_mul_lo_u32 v5, v13, s40
	v_mul_lo_u32 v18, v12, s41
	v_add3_u32 v5, v17, v18, v5
	v_sub_co_u32_e32 v10, vcc, v10, v16
	s_add_i32 s36, s36, -1
	v_subb_co_u32_e32 v5, vcc, v11, v5, vcc
	s_add_u32 s38, s38, -8
	s_waitcnt lgkmcnt(0)
	v_mul_lo_u32 v5, s4, v5
	v_mul_lo_u32 v11, s5, v10
	v_mad_u64_u32 v[8:9], s[4:5], s4, v10, v[8:9]
	s_addc_u32 s39, s39, -1
	s_cmp_gt_u32 s36, 2
	v_add3_u32 v9, v11, v9, v5
	s_cbranch_scc0 .LBB32_17
; %bb.16:                               ;   in Loop: Header=BB32_11 Depth=2
	v_pk_mov_b32 v[10:11], v[12:13], v[12:13] op_sel:[0,1]
	s_branch .LBB32_11
.LBB32_17:                              ;   in Loop: Header=BB32_10 Depth=1
	v_mul_lo_u32 v5, s27, v12
	v_mul_lo_u32 v13, s26, v13
	v_mad_u64_u32 v[10:11], s[4:5], s26, v12, 0
	v_add3_u32 v11, v11, v13, v5
	v_lshlrev_b64 v[10:11], 2, v[10:11]
	v_mov_b32_e32 v5, s29
	v_add_co_u32_e32 v10, vcc, s28, v10
	v_addc_co_u32_e32 v5, vcc, v5, v11, vcc
	v_lshlrev_b64 v[8:9], 2, v[8:9]
	v_add_co_u32_e32 v8, vcc, v10, v8
	v_addc_co_u32_e32 v9, vcc, v5, v9, vcc
	global_load_dword v8, v[8:9], off
	s_waitcnt vmcnt(0)
	v_ashrrev_i32_e32 v9, 31, v8
	v_cmp_le_i64_e32 vcc, s[10:11], v[8:9]
	v_cmp_ge_i64_e64 s[4:5], s[12:13], v[8:9]
	s_and_b64 s[4:5], vcc, s[4:5]
	s_and_saveexec_b64 s[38:39], s[4:5]
	s_cbranch_execz .LBB32_9
; %bb.18:                               ;   in Loop: Header=BB32_10 Depth=1
	v_mov_b32_e32 v5, s11
	v_subrev_co_u32_e32 v8, vcc, s10, v8
	v_subb_co_u32_e32 v5, vcc, v9, v5, vcc
	v_mul_lo_u32 v5, v5, s8
	v_mul_lo_u32 v10, v8, s9
	v_mad_u64_u32 v[8:9], s[4:5], v8, s8, 0
	v_add3_u32 v9, v9, v10, v5
	v_or_b32_e32 v5, s48, v9
	v_cmp_ne_u64_e32 vcc, 0, v[4:5]
                                        ; implicit-def: $vgpr10_vgpr11
	s_and_saveexec_b64 s[4:5], vcc
	s_xor_b64 s[40:41], exec, s[4:5]
	s_cbranch_execz .LBB32_20
; %bb.19:                               ;   in Loop: Header=BB32_10 Depth=1
	s_ashr_i32 s42, s48, 31
	s_add_u32 s4, s33, s42
	s_mov_b32 s43, s42
	s_addc_u32 s5, s48, s42
	s_xor_b64 s[44:45], s[4:5], s[42:43]
	v_cvt_f32_u32_e32 v5, s44
	v_cvt_f32_u32_e32 v10, s45
	s_sub_u32 s4, 0, s44
	s_subb_u32 s5, 0, s45
	v_mac_f32_e32 v5, 0x4f800000, v10
	v_rcp_f32_e32 v5, v5
	v_mul_f32_e32 v5, 0x5f7ffffc, v5
	v_mul_f32_e32 v10, 0x2f800000, v5
	v_trunc_f32_e32 v10, v10
	v_mac_f32_e32 v5, 0xcf800000, v10
	v_cvt_u32_f32_e32 v10, v10
	v_cvt_u32_f32_e32 v5, v5
	v_mul_lo_u32 v11, s4, v10
	v_mul_hi_u32 v13, s4, v5
	v_mul_lo_u32 v12, s5, v5
	v_add_u32_e32 v11, v13, v11
	v_mul_lo_u32 v16, s4, v5
	v_add_u32_e32 v11, v11, v12
	v_mul_lo_u32 v13, v5, v11
	v_mul_hi_u32 v17, v5, v16
	v_mul_hi_u32 v12, v5, v11
	v_add_co_u32_e32 v13, vcc, v17, v13
	v_addc_co_u32_e32 v12, vcc, 0, v12, vcc
	v_mul_hi_u32 v18, v10, v16
	v_mul_lo_u32 v16, v10, v16
	v_add_co_u32_e32 v13, vcc, v13, v16
	v_mul_hi_u32 v17, v10, v11
	v_addc_co_u32_e32 v12, vcc, v12, v18, vcc
	v_addc_co_u32_e32 v13, vcc, 0, v17, vcc
	v_mul_lo_u32 v11, v10, v11
	v_add_co_u32_e32 v11, vcc, v12, v11
	v_addc_co_u32_e32 v12, vcc, 0, v13, vcc
	v_add_co_u32_e32 v5, vcc, v5, v11
	v_addc_co_u32_e32 v10, vcc, v10, v12, vcc
	v_mul_lo_u32 v11, s4, v10
	v_mul_hi_u32 v12, s4, v5
	v_add_u32_e32 v11, v12, v11
	v_mul_lo_u32 v12, s5, v5
	v_add_u32_e32 v11, v11, v12
	v_mul_lo_u32 v13, s4, v5
	v_mul_hi_u32 v16, v10, v13
	v_mul_lo_u32 v17, v10, v13
	v_mul_lo_u32 v19, v5, v11
	v_mul_hi_u32 v13, v5, v13
	v_mul_hi_u32 v18, v5, v11
	v_add_co_u32_e32 v13, vcc, v13, v19
	v_addc_co_u32_e32 v18, vcc, 0, v18, vcc
	v_add_co_u32_e32 v13, vcc, v13, v17
	v_mul_hi_u32 v12, v10, v11
	v_addc_co_u32_e32 v13, vcc, v18, v16, vcc
	v_addc_co_u32_e32 v12, vcc, 0, v12, vcc
	v_mul_lo_u32 v11, v10, v11
	v_add_co_u32_e32 v11, vcc, v13, v11
	v_addc_co_u32_e32 v12, vcc, 0, v12, vcc
	v_add_co_u32_e32 v5, vcc, v5, v11
	v_addc_co_u32_e32 v10, vcc, v10, v12, vcc
	v_ashrrev_i32_e32 v12, 31, v9
	v_add_co_u32_e32 v8, vcc, v8, v12
	v_addc_co_u32_e32 v9, vcc, v9, v12, vcc
	v_xor_b32_e32 v16, v8, v12
	v_xor_b32_e32 v13, v9, v12
	v_mad_u64_u32 v[8:9], s[4:5], v16, v10, 0
	v_mul_hi_u32 v11, v16, v5
	v_add_co_u32_e32 v17, vcc, v11, v8
	v_addc_co_u32_e32 v18, vcc, 0, v9, vcc
	v_mad_u64_u32 v[8:9], s[4:5], v13, v10, 0
	v_mad_u64_u32 v[10:11], s[4:5], v13, v5, 0
	v_add_co_u32_e32 v5, vcc, v17, v10
	v_addc_co_u32_e32 v5, vcc, v18, v11, vcc
	v_addc_co_u32_e32 v9, vcc, 0, v9, vcc
	v_add_co_u32_e32 v5, vcc, v5, v8
	v_addc_co_u32_e32 v8, vcc, 0, v9, vcc
	v_mul_lo_u32 v10, s45, v5
	v_mul_lo_u32 v11, s44, v8
	v_mad_u64_u32 v[8:9], s[4:5], s44, v5, 0
	v_add3_u32 v9, v9, v11, v10
	v_sub_u32_e32 v10, v13, v9
	v_mov_b32_e32 v11, s45
	v_sub_co_u32_e32 v8, vcc, v16, v8
	v_subb_co_u32_e64 v10, s[4:5], v10, v11, vcc
	v_subrev_co_u32_e64 v11, s[4:5], s44, v8
	v_subbrev_co_u32_e64 v10, s[4:5], 0, v10, s[4:5]
	v_cmp_le_u32_e64 s[4:5], s45, v10
	v_subb_co_u32_e32 v9, vcc, v13, v9, vcc
	v_cndmask_b32_e64 v16, 0, -1, s[4:5]
	v_cmp_le_u32_e64 s[4:5], s44, v11
	v_cmp_le_u32_e32 vcc, s45, v9
	v_cndmask_b32_e64 v11, 0, -1, s[4:5]
	v_cmp_eq_u32_e64 s[4:5], s45, v10
	v_cndmask_b32_e64 v13, 0, -1, vcc
	v_cmp_le_u32_e32 vcc, s44, v8
	v_cndmask_b32_e64 v10, v16, v11, s[4:5]
	v_cndmask_b32_e64 v8, 0, -1, vcc
	v_cmp_eq_u32_e32 vcc, s45, v9
	v_add_co_u32_e64 v11, s[4:5], 2, v5
	v_add_co_u32_e64 v16, s[4:5], 1, v5
	v_cndmask_b32_e32 v8, v13, v8, vcc
	v_cmp_ne_u32_e32 vcc, 0, v10
	v_cndmask_b32_e32 v9, v16, v11, vcc
	v_cmp_ne_u32_e32 vcc, 0, v8
	v_cndmask_b32_e32 v5, v5, v9, vcc
	v_xor_b32_e32 v8, s42, v12
	v_xor_b32_e32 v5, v5, v8
	v_sub_co_u32_e32 v10, vcc, v5, v8
                                        ; implicit-def: $vgpr8_vgpr9
.LBB32_20:                              ;   in Loop: Header=BB32_10 Depth=1
	s_andn2_saveexec_b64 s[4:5], s[40:41]
	s_cbranch_execz .LBB32_8
; %bb.21:                               ;   in Loop: Header=BB32_10 Depth=1
	v_cvt_f32_u32_e32 v5, s33
	s_sub_i32 s36, 0, s33
	v_rcp_iflag_f32_e32 v5, v5
	v_mul_f32_e32 v5, 0x4f7ffffe, v5
	v_cvt_u32_f32_e32 v5, v5
	v_mul_lo_u32 v9, s36, v5
	v_mul_hi_u32 v9, v5, v9
	v_add_u32_e32 v5, v5, v9
	v_mul_hi_u32 v5, v8, v5
	v_mul_lo_u32 v9, v5, s33
	v_sub_u32_e32 v8, v8, v9
	v_add_u32_e32 v10, 1, v5
	v_subrev_u32_e32 v9, s33, v8
	v_cmp_le_u32_e32 vcc, s33, v8
	v_cndmask_b32_e32 v8, v8, v9, vcc
	v_cndmask_b32_e32 v5, v5, v10, vcc
	v_add_u32_e32 v9, 1, v5
	v_cmp_le_u32_e32 vcc, s33, v8
	v_cndmask_b32_e32 v10, v5, v9, vcc
	s_branch .LBB32_8
.LBB32_22:
	s_or_b64 exec, exec, s[6:7]
; %bb.23:
	s_waitcnt lgkmcnt(0)
	s_barrier
	s_and_saveexec_b64 s[2:3], s[0:1]
	s_cbranch_execz .LBB32_26
; %bb.24:
	v_mad_u64_u32 v[4:5], s[0:1], s22, v0, 0
	v_mov_b32_e32 v6, v5
	v_and_b32_e32 v2, 0xffff, v7
	v_mad_u64_u32 v[6:7], s[0:1], s23, v0, v[6:7]
	v_mov_b32_e32 v5, v6
	v_mad_u64_u32 v[6:7], s[0:1], s22, v2, 0
	v_mov_b32_e32 v8, v7
	v_lshlrev_b64 v[4:5], 3, v[4:5]
	v_mad_u64_u32 v[8:9], s[0:1], s23, v2, v[8:9]
	v_mov_b32_e32 v3, s17
	v_add_co_u32_e32 v4, vcc, s16, v4
	v_mov_b32_e32 v7, v8
	v_addc_co_u32_e32 v5, vcc, v3, v5, vcc
	v_lshlrev_b64 v[6:7], 3, v[6:7]
	v_lshlrev_b32_e32 v3, 3, v15
	s_mov_b64 s[0:1], 0
.LBB32_25:                              ; =>This Inner Loop Header: Depth=1
	ds_read_b64 v[8:9], v14
	v_add_co_u32_e32 v0, vcc, v0, v2
	v_addc_co_u32_e32 v1, vcc, 0, v1, vcc
	s_waitcnt lgkmcnt(0)
	global_atomic_add_f64 v[4:5], v[8:9], off
	v_cmp_le_i64_e32 vcc, s[18:19], v[0:1]
	s_or_b64 s[0:1], vcc, s[0:1]
	v_add_co_u32_e32 v4, vcc, v4, v6
	v_add_u32_e32 v14, v14, v3
	v_addc_co_u32_e32 v5, vcc, v5, v7, vcc
	s_andn2_b64 exec, exec, s[0:1]
	s_cbranch_execnz .LBB32_25
.LBB32_26:
	s_endpgm
	.section	.rodata,"a",@progbits
	.p2align	6, 0x0
	.amdhsa_kernel _ZN2at4cuda17kernelHistogram1DIdilLi1ELi2ELin1ELNS0_23CUDAHistogramMemoryTypeE0EZNS0_21CUDA_tensor_histogramIdiLb1EEEbNS_6TensorES4_S4_lNS_14AccumulateTypeIT0_Lb1EE4typeES8_NS0_13TensorArgTypeES9_S9_EUllE_EEvNS0_6detail10TensorInfoIT_T1_EESF_NSC_IKS6_SE_EElS8_S8_SE_T6_
		.amdhsa_group_segment_fixed_size 0
		.amdhsa_private_segment_fixed_size 0
		.amdhsa_kernarg_size 1952
		.amdhsa_user_sgpr_count 6
		.amdhsa_user_sgpr_private_segment_buffer 1
		.amdhsa_user_sgpr_dispatch_ptr 0
		.amdhsa_user_sgpr_queue_ptr 0
		.amdhsa_user_sgpr_kernarg_segment_ptr 1
		.amdhsa_user_sgpr_dispatch_id 0
		.amdhsa_user_sgpr_flat_scratch_init 0
		.amdhsa_user_sgpr_kernarg_preload_length 0
		.amdhsa_user_sgpr_kernarg_preload_offset 0
		.amdhsa_user_sgpr_private_segment_size 0
		.amdhsa_uses_dynamic_stack 0
		.amdhsa_system_sgpr_private_segment_wavefront_offset 0
		.amdhsa_system_sgpr_workgroup_id_x 1
		.amdhsa_system_sgpr_workgroup_id_y 0
		.amdhsa_system_sgpr_workgroup_id_z 0
		.amdhsa_system_sgpr_workgroup_info 0
		.amdhsa_system_vgpr_workitem_id 0
		.amdhsa_next_free_vgpr 24
		.amdhsa_next_free_sgpr 50
		.amdhsa_accum_offset 24
		.amdhsa_reserve_vcc 1
		.amdhsa_reserve_flat_scratch 0
		.amdhsa_float_round_mode_32 0
		.amdhsa_float_round_mode_16_64 0
		.amdhsa_float_denorm_mode_32 3
		.amdhsa_float_denorm_mode_16_64 3
		.amdhsa_dx10_clamp 1
		.amdhsa_ieee_mode 1
		.amdhsa_fp16_overflow 0
		.amdhsa_tg_split 0
		.amdhsa_exception_fp_ieee_invalid_op 0
		.amdhsa_exception_fp_denorm_src 0
		.amdhsa_exception_fp_ieee_div_zero 0
		.amdhsa_exception_fp_ieee_overflow 0
		.amdhsa_exception_fp_ieee_underflow 0
		.amdhsa_exception_fp_ieee_inexact 0
		.amdhsa_exception_int_div_zero 0
	.end_amdhsa_kernel
	.section	.text._ZN2at4cuda17kernelHistogram1DIdilLi1ELi2ELin1ELNS0_23CUDAHistogramMemoryTypeE0EZNS0_21CUDA_tensor_histogramIdiLb1EEEbNS_6TensorES4_S4_lNS_14AccumulateTypeIT0_Lb1EE4typeES8_NS0_13TensorArgTypeES9_S9_EUllE_EEvNS0_6detail10TensorInfoIT_T1_EESF_NSC_IKS6_SE_EElS8_S8_SE_T6_,"axG",@progbits,_ZN2at4cuda17kernelHistogram1DIdilLi1ELi2ELin1ELNS0_23CUDAHistogramMemoryTypeE0EZNS0_21CUDA_tensor_histogramIdiLb1EEEbNS_6TensorES4_S4_lNS_14AccumulateTypeIT0_Lb1EE4typeES8_NS0_13TensorArgTypeES9_S9_EUllE_EEvNS0_6detail10TensorInfoIT_T1_EESF_NSC_IKS6_SE_EElS8_S8_SE_T6_,comdat
.Lfunc_end32:
	.size	_ZN2at4cuda17kernelHistogram1DIdilLi1ELi2ELin1ELNS0_23CUDAHistogramMemoryTypeE0EZNS0_21CUDA_tensor_histogramIdiLb1EEEbNS_6TensorES4_S4_lNS_14AccumulateTypeIT0_Lb1EE4typeES8_NS0_13TensorArgTypeES9_S9_EUllE_EEvNS0_6detail10TensorInfoIT_T1_EESF_NSC_IKS6_SE_EElS8_S8_SE_T6_, .Lfunc_end32-_ZN2at4cuda17kernelHistogram1DIdilLi1ELi2ELin1ELNS0_23CUDAHistogramMemoryTypeE0EZNS0_21CUDA_tensor_histogramIdiLb1EEEbNS_6TensorES4_S4_lNS_14AccumulateTypeIT0_Lb1EE4typeES8_NS0_13TensorArgTypeES9_S9_EUllE_EEvNS0_6detail10TensorInfoIT_T1_EESF_NSC_IKS6_SE_EElS8_S8_SE_T6_
                                        ; -- End function
	.section	.AMDGPU.csdata,"",@progbits
; Kernel info:
; codeLenInByte = 2588
; NumSgprs: 54
; NumVgprs: 24
; NumAgprs: 0
; TotalNumVgprs: 24
; ScratchSize: 0
; MemoryBound: 0
; FloatMode: 240
; IeeeMode: 1
; LDSByteSize: 0 bytes/workgroup (compile time only)
; SGPRBlocks: 6
; VGPRBlocks: 2
; NumSGPRsForWavesPerEU: 54
; NumVGPRsForWavesPerEU: 24
; AccumOffset: 24
; Occupancy: 8
; WaveLimiterHint : 1
; COMPUTE_PGM_RSRC2:SCRATCH_EN: 0
; COMPUTE_PGM_RSRC2:USER_SGPR: 6
; COMPUTE_PGM_RSRC2:TRAP_HANDLER: 0
; COMPUTE_PGM_RSRC2:TGID_X_EN: 1
; COMPUTE_PGM_RSRC2:TGID_Y_EN: 0
; COMPUTE_PGM_RSRC2:TGID_Z_EN: 0
; COMPUTE_PGM_RSRC2:TIDIG_COMP_CNT: 0
; COMPUTE_PGM_RSRC3_GFX90A:ACCUM_OFFSET: 5
; COMPUTE_PGM_RSRC3_GFX90A:TG_SPLIT: 0
	.section	.text._ZN2at4cuda17kernelHistogram1DIdilLi1ELi2ELin1ELNS0_23CUDAHistogramMemoryTypeE1EZNS0_21CUDA_tensor_histogramIdiLb1EEEbNS_6TensorES4_S4_lNS_14AccumulateTypeIT0_Lb1EE4typeES8_NS0_13TensorArgTypeES9_S9_EUllE_EEvNS0_6detail10TensorInfoIT_T1_EESF_NSC_IKS6_SE_EElS8_S8_SE_T6_,"axG",@progbits,_ZN2at4cuda17kernelHistogram1DIdilLi1ELi2ELin1ELNS0_23CUDAHistogramMemoryTypeE1EZNS0_21CUDA_tensor_histogramIdiLb1EEEbNS_6TensorES4_S4_lNS_14AccumulateTypeIT0_Lb1EE4typeES8_NS0_13TensorArgTypeES9_S9_EUllE_EEvNS0_6detail10TensorInfoIT_T1_EESF_NSC_IKS6_SE_EElS8_S8_SE_T6_,comdat
	.protected	_ZN2at4cuda17kernelHistogram1DIdilLi1ELi2ELin1ELNS0_23CUDAHistogramMemoryTypeE1EZNS0_21CUDA_tensor_histogramIdiLb1EEEbNS_6TensorES4_S4_lNS_14AccumulateTypeIT0_Lb1EE4typeES8_NS0_13TensorArgTypeES9_S9_EUllE_EEvNS0_6detail10TensorInfoIT_T1_EESF_NSC_IKS6_SE_EElS8_S8_SE_T6_ ; -- Begin function _ZN2at4cuda17kernelHistogram1DIdilLi1ELi2ELin1ELNS0_23CUDAHistogramMemoryTypeE1EZNS0_21CUDA_tensor_histogramIdiLb1EEEbNS_6TensorES4_S4_lNS_14AccumulateTypeIT0_Lb1EE4typeES8_NS0_13TensorArgTypeES9_S9_EUllE_EEvNS0_6detail10TensorInfoIT_T1_EESF_NSC_IKS6_SE_EElS8_S8_SE_T6_
	.globl	_ZN2at4cuda17kernelHistogram1DIdilLi1ELi2ELin1ELNS0_23CUDAHistogramMemoryTypeE1EZNS0_21CUDA_tensor_histogramIdiLb1EEEbNS_6TensorES4_S4_lNS_14AccumulateTypeIT0_Lb1EE4typeES8_NS0_13TensorArgTypeES9_S9_EUllE_EEvNS0_6detail10TensorInfoIT_T1_EESF_NSC_IKS6_SE_EElS8_S8_SE_T6_
	.p2align	8
	.type	_ZN2at4cuda17kernelHistogram1DIdilLi1ELi2ELin1ELNS0_23CUDAHistogramMemoryTypeE1EZNS0_21CUDA_tensor_histogramIdiLb1EEEbNS_6TensorES4_S4_lNS_14AccumulateTypeIT0_Lb1EE4typeES8_NS0_13TensorArgTypeES9_S9_EUllE_EEvNS0_6detail10TensorInfoIT_T1_EESF_NSC_IKS6_SE_EElS8_S8_SE_T6_,@function
_ZN2at4cuda17kernelHistogram1DIdilLi1ELi2ELin1ELNS0_23CUDAHistogramMemoryTypeE1EZNS0_21CUDA_tensor_histogramIdiLb1EEEbNS_6TensorES4_S4_lNS_14AccumulateTypeIT0_Lb1EE4typeES8_NS0_13TensorArgTypeES9_S9_EUllE_EEvNS0_6detail10TensorInfoIT_T1_EESF_NSC_IKS6_SE_EElS8_S8_SE_T6_: ; @_ZN2at4cuda17kernelHistogram1DIdilLi1ELi2ELin1ELNS0_23CUDAHistogramMemoryTypeE1EZNS0_21CUDA_tensor_histogramIdiLb1EEEbNS_6TensorES4_S4_lNS_14AccumulateTypeIT0_Lb1EE4typeES8_NS0_13TensorArgTypeES9_S9_EUllE_EEvNS0_6detail10TensorInfoIT_T1_EESF_NSC_IKS6_SE_EElS8_S8_SE_T6_
; %bb.0:
	s_load_dword s2, s[4:5], 0x6ac
	s_load_dwordx8 s[8:15], s[4:5], 0x4e0
	s_add_u32 s0, s4, 0x6a0
	s_addc_u32 s1, s5, 0
	v_mov_b32_e32 v2, 0
	s_waitcnt lgkmcnt(0)
	s_and_b32 s2, s2, 0xffff
	s_mul_i32 s6, s6, s2
	v_add_u32_e32 v0, s6, v0
	v_mov_b32_e32 v1, v2
	v_cmp_gt_i64_e32 vcc, s[14:15], v[0:1]
	s_and_saveexec_b64 s[6:7], vcc
	s_cbranch_execz .LBB33_16
; %bb.1:
	s_load_dwordx2 s[6:7], s[4:5], 0x5d0
	s_load_dwordx2 s[16:17], s[4:5], 0x500
	s_load_dword s3, s[4:5], 0x4d8
	s_load_dwordx2 s[18:19], s[4:5], 0x0
	s_load_dwordx2 s[20:21], s[4:5], 0xd0
	s_load_dword s28, s[0:1], 0x0
	s_add_u32 s26, s4, 0x340
	s_addc_u32 s27, s5, 0
	s_mov_b32 s42, 0
	s_waitcnt lgkmcnt(0)
	s_cmp_gt_i32 s3, 1
	s_cselect_b64 s[0:1], -1, 0
	s_sub_u32 s33, s12, s10
	s_subb_u32 s40, s13, s11
	s_mul_i32 s41, s28, s2
	s_add_i32 s43, s3, 1
	s_add_i32 s2, s3, -1
	s_mov_b32 s3, s42
	s_load_dwordx2 s[22:23], s[4:5], 0x410
	s_load_dwordx2 s[24:25], s[4:5], 0x340
	s_lshl_b64 s[2:3], s[2:3], 3
	s_add_u32 s2, s2, s26
	s_addc_u32 s3, s3, s27
	s_add_u32 s4, s2, 8
	v_cndmask_b32_e64 v3, 0, 1, s[0:1]
	s_addc_u32 s5, s3, 0
	s_mov_b64 s[26:27], 0
	v_cmp_ne_u32_e64 s[0:1], 1, v3
	s_branch .LBB33_4
.LBB33_2:                               ;   in Loop: Header=BB33_4 Depth=1
	s_or_b64 exec, exec, s[2:3]
	v_mul_lo_u32 v3, v1, s6
	v_mul_lo_u32 v7, v0, s7
	v_mad_u64_u32 v[4:5], s[2:3], v0, s6, 0
	v_add3_u32 v5, v5, v7, v3
	v_lshlrev_b64 v[4:5], 3, v[4:5]
	v_mov_b32_e32 v3, s17
	v_add_co_u32_e32 v4, vcc, s16, v4
	v_addc_co_u32_e32 v5, vcc, v3, v5, vcc
	global_load_dwordx2 v[4:5], v[4:5], off
	v_ashrrev_i32_e32 v7, 31, v6
	v_cmp_eq_u64_e32 vcc, s[8:9], v[6:7]
	v_cndmask_b32_e64 v3, 0, 1, vcc
	v_sub_co_u32_e32 v3, vcc, v6, v3
	v_subbrev_co_u32_e32 v6, vcc, 0, v7, vcc
	v_mul_lo_u32 v8, v6, s20
	v_mul_lo_u32 v9, v3, s21
	v_mad_u64_u32 v[6:7], s[2:3], v3, s20, 0
	v_add3_u32 v7, v7, v9, v8
	v_lshlrev_b64 v[6:7], 3, v[6:7]
	v_mov_b32_e32 v3, s19
	v_add_co_u32_e32 v6, vcc, s18, v6
	v_addc_co_u32_e32 v7, vcc, v3, v7, vcc
	s_waitcnt vmcnt(0)
	global_atomic_add_f64 v[6:7], v[4:5], off
.LBB33_3:                               ;   in Loop: Header=BB33_4 Depth=1
	s_or_b64 exec, exec, s[28:29]
	v_mov_b32_e32 v3, s42
	v_add_co_u32_e32 v0, vcc, s41, v0
	v_addc_co_u32_e32 v1, vcc, v1, v3, vcc
	v_cmp_le_i64_e32 vcc, s[14:15], v[0:1]
	s_or_b64 s[26:27], vcc, s[26:27]
	s_andn2_b64 exec, exec, s[26:27]
	s_cbranch_execz .LBB33_16
.LBB33_4:                               ; =>This Loop Header: Depth=1
                                        ;     Child Loop BB33_5 Depth 2
	s_and_b64 vcc, exec, s[0:1]
	v_pk_mov_b32 v[4:5], 0, 0
	s_mov_b64 s[28:29], s[4:5]
	s_mov_b32 s44, s43
	v_pk_mov_b32 v[6:7], v[0:1], v[0:1] op_sel:[0,1]
	v_pk_mov_b32 v[8:9], v[0:1], v[0:1] op_sel:[0,1]
	s_cbranch_vccnz .LBB33_11
.LBB33_5:                               ;   Parent Loop BB33_4 Depth=1
                                        ; =>  This Inner Loop Header: Depth=2
	s_load_dwordx2 s[30:31], s[28:29], 0x0
                                        ; implicit-def: $vgpr8_vgpr9
	s_waitcnt lgkmcnt(0)
	v_or_b32_e32 v3, s31, v7
	v_cmp_ne_u64_e32 vcc, 0, v[2:3]
	s_and_saveexec_b64 s[2:3], vcc
	s_xor_b64 s[34:35], exec, s[2:3]
	s_cbranch_execz .LBB33_7
; %bb.6:                                ;   in Loop: Header=BB33_5 Depth=2
	s_ashr_i32 s36, s31, 31
	s_add_u32 s2, s30, s36
	s_mov_b32 s37, s36
	s_addc_u32 s3, s31, s36
	s_xor_b64 s[38:39], s[2:3], s[36:37]
	v_cvt_f32_u32_e32 v3, s38
	v_cvt_f32_u32_e32 v8, s39
	s_sub_u32 s2, 0, s38
	s_subb_u32 s3, 0, s39
	v_mac_f32_e32 v3, 0x4f800000, v8
	v_rcp_f32_e32 v3, v3
	v_mul_f32_e32 v3, 0x5f7ffffc, v3
	v_mul_f32_e32 v8, 0x2f800000, v3
	v_trunc_f32_e32 v8, v8
	v_mac_f32_e32 v3, 0xcf800000, v8
	v_cvt_u32_f32_e32 v8, v8
	v_cvt_u32_f32_e32 v3, v3
	v_mul_lo_u32 v9, s2, v8
	v_mul_hi_u32 v11, s2, v3
	v_mul_lo_u32 v10, s3, v3
	v_add_u32_e32 v9, v11, v9
	v_mul_lo_u32 v12, s2, v3
	v_add_u32_e32 v9, v9, v10
	v_mul_lo_u32 v11, v3, v9
	v_mul_hi_u32 v13, v3, v12
	v_mul_hi_u32 v10, v3, v9
	v_add_co_u32_e32 v11, vcc, v13, v11
	v_addc_co_u32_e32 v10, vcc, 0, v10, vcc
	v_mul_hi_u32 v14, v8, v12
	v_mul_lo_u32 v12, v8, v12
	v_add_co_u32_e32 v11, vcc, v11, v12
	v_mul_hi_u32 v13, v8, v9
	v_addc_co_u32_e32 v10, vcc, v10, v14, vcc
	v_addc_co_u32_e32 v11, vcc, 0, v13, vcc
	v_mul_lo_u32 v9, v8, v9
	v_add_co_u32_e32 v9, vcc, v10, v9
	v_addc_co_u32_e32 v10, vcc, 0, v11, vcc
	v_add_co_u32_e32 v3, vcc, v3, v9
	v_addc_co_u32_e32 v8, vcc, v8, v10, vcc
	v_mul_lo_u32 v9, s2, v8
	v_mul_hi_u32 v10, s2, v3
	v_add_u32_e32 v9, v10, v9
	v_mul_lo_u32 v10, s3, v3
	v_add_u32_e32 v9, v9, v10
	v_mul_lo_u32 v11, s2, v3
	v_mul_hi_u32 v12, v8, v11
	v_mul_lo_u32 v13, v8, v11
	v_mul_lo_u32 v15, v3, v9
	v_mul_hi_u32 v11, v3, v11
	v_mul_hi_u32 v14, v3, v9
	v_add_co_u32_e32 v11, vcc, v11, v15
	v_addc_co_u32_e32 v14, vcc, 0, v14, vcc
	v_add_co_u32_e32 v11, vcc, v11, v13
	v_mul_hi_u32 v10, v8, v9
	v_addc_co_u32_e32 v11, vcc, v14, v12, vcc
	v_addc_co_u32_e32 v10, vcc, 0, v10, vcc
	v_mul_lo_u32 v9, v8, v9
	v_add_co_u32_e32 v9, vcc, v11, v9
	v_addc_co_u32_e32 v10, vcc, 0, v10, vcc
	v_add_co_u32_e32 v3, vcc, v3, v9
	v_addc_co_u32_e32 v10, vcc, v8, v10, vcc
	v_ashrrev_i32_e32 v12, 31, v7
	v_add_co_u32_e32 v8, vcc, v6, v12
	v_addc_co_u32_e32 v9, vcc, v7, v12, vcc
	v_xor_b32_e32 v14, v8, v12
	v_xor_b32_e32 v13, v9, v12
	v_mad_u64_u32 v[8:9], s[2:3], v14, v10, 0
	v_mul_hi_u32 v11, v14, v3
	v_add_co_u32_e32 v15, vcc, v11, v8
	v_addc_co_u32_e32 v16, vcc, 0, v9, vcc
	v_mad_u64_u32 v[8:9], s[2:3], v13, v10, 0
	v_mad_u64_u32 v[10:11], s[2:3], v13, v3, 0
	v_add_co_u32_e32 v3, vcc, v15, v10
	v_addc_co_u32_e32 v3, vcc, v16, v11, vcc
	v_addc_co_u32_e32 v9, vcc, 0, v9, vcc
	v_add_co_u32_e32 v3, vcc, v3, v8
	v_addc_co_u32_e32 v10, vcc, 0, v9, vcc
	v_mul_lo_u32 v11, s39, v3
	v_mul_lo_u32 v15, s38, v10
	v_mad_u64_u32 v[8:9], s[2:3], s38, v3, 0
	v_add3_u32 v9, v9, v15, v11
	v_sub_u32_e32 v11, v13, v9
	v_mov_b32_e32 v15, s39
	v_sub_co_u32_e32 v8, vcc, v14, v8
	v_subb_co_u32_e64 v11, s[2:3], v11, v15, vcc
	v_subrev_co_u32_e64 v14, s[2:3], s38, v8
	v_subbrev_co_u32_e64 v11, s[2:3], 0, v11, s[2:3]
	v_cmp_le_u32_e64 s[2:3], s39, v11
	v_cndmask_b32_e64 v15, 0, -1, s[2:3]
	v_cmp_le_u32_e64 s[2:3], s38, v14
	v_cndmask_b32_e64 v14, 0, -1, s[2:3]
	v_cmp_eq_u32_e64 s[2:3], s39, v11
	v_cndmask_b32_e64 v11, v15, v14, s[2:3]
	v_add_co_u32_e64 v14, s[2:3], 2, v3
	v_subb_co_u32_e32 v9, vcc, v13, v9, vcc
	v_addc_co_u32_e64 v15, s[2:3], 0, v10, s[2:3]
	v_cmp_le_u32_e32 vcc, s39, v9
	v_add_co_u32_e64 v16, s[2:3], 1, v3
	v_cndmask_b32_e64 v13, 0, -1, vcc
	v_cmp_le_u32_e32 vcc, s38, v8
	v_addc_co_u32_e64 v17, s[2:3], 0, v10, s[2:3]
	v_cndmask_b32_e64 v8, 0, -1, vcc
	v_cmp_eq_u32_e32 vcc, s39, v9
	v_cmp_ne_u32_e64 s[2:3], 0, v11
	v_cndmask_b32_e32 v8, v13, v8, vcc
	v_cmp_ne_u32_e32 vcc, 0, v8
	v_cndmask_b32_e64 v9, v16, v14, s[2:3]
	v_cndmask_b32_e64 v11, v17, v15, s[2:3]
	v_cndmask_b32_e32 v3, v3, v9, vcc
	v_xor_b32_e32 v9, s36, v12
	v_cndmask_b32_e32 v8, v10, v11, vcc
	v_xor_b32_e32 v3, v3, v9
	v_xor_b32_e32 v10, v8, v9
	v_sub_co_u32_e32 v8, vcc, v3, v9
	v_subb_co_u32_e32 v9, vcc, v10, v9, vcc
.LBB33_7:                               ;   in Loop: Header=BB33_5 Depth=2
	s_andn2_saveexec_b64 s[2:3], s[34:35]
	s_cbranch_execz .LBB33_9
; %bb.8:                                ;   in Loop: Header=BB33_5 Depth=2
	v_cvt_f32_u32_e32 v3, s30
	s_sub_i32 s34, 0, s30
	v_rcp_iflag_f32_e32 v3, v3
	v_mul_f32_e32 v3, 0x4f7ffffe, v3
	v_cvt_u32_f32_e32 v3, v3
	v_mul_lo_u32 v8, s34, v3
	v_mul_hi_u32 v8, v3, v8
	v_add_u32_e32 v3, v3, v8
	v_mul_hi_u32 v3, v6, v3
	v_mul_lo_u32 v8, v3, s30
	v_sub_u32_e32 v8, v6, v8
	v_add_u32_e32 v9, 1, v3
	v_subrev_u32_e32 v10, s30, v8
	v_cmp_le_u32_e32 vcc, s30, v8
	v_cndmask_b32_e32 v8, v8, v10, vcc
	v_cndmask_b32_e32 v3, v3, v9, vcc
	v_add_u32_e32 v9, 1, v3
	v_cmp_le_u32_e32 vcc, s30, v8
	v_cndmask_b32_e32 v8, v3, v9, vcc
	v_mov_b32_e32 v9, v2
.LBB33_9:                               ;   in Loop: Header=BB33_5 Depth=2
	s_or_b64 exec, exec, s[2:3]
	v_mad_u64_u32 v[10:11], s[2:3], v8, s30, 0
	s_load_dwordx2 s[2:3], s[28:29], 0xc8
	v_mul_lo_u32 v3, v9, s30
	v_mul_lo_u32 v12, v8, s31
	v_add3_u32 v3, v11, v12, v3
	v_sub_co_u32_e32 v6, vcc, v6, v10
	s_add_i32 s44, s44, -1
	v_subb_co_u32_e32 v3, vcc, v7, v3, vcc
	s_add_u32 s28, s28, -8
	s_waitcnt lgkmcnt(0)
	v_mul_lo_u32 v3, s2, v3
	v_mul_lo_u32 v7, s3, v6
	v_mad_u64_u32 v[4:5], s[2:3], s2, v6, v[4:5]
	s_addc_u32 s29, s29, -1
	s_cmp_gt_u32 s44, 2
	v_add3_u32 v5, v7, v5, v3
	s_cbranch_scc0 .LBB33_11
; %bb.10:                               ;   in Loop: Header=BB33_5 Depth=2
	v_pk_mov_b32 v[6:7], v[8:9], v[8:9] op_sel:[0,1]
	s_branch .LBB33_5
.LBB33_11:                              ;   in Loop: Header=BB33_4 Depth=1
	s_waitcnt lgkmcnt(0)
	v_mul_lo_u32 v3, s23, v8
	v_mul_lo_u32 v9, s22, v9
	v_mad_u64_u32 v[6:7], s[2:3], s22, v8, 0
	v_add3_u32 v7, v7, v9, v3
	v_lshlrev_b64 v[6:7], 2, v[6:7]
	v_mov_b32_e32 v3, s25
	v_add_co_u32_e32 v6, vcc, s24, v6
	v_addc_co_u32_e32 v3, vcc, v3, v7, vcc
	v_lshlrev_b64 v[4:5], 2, v[4:5]
	v_add_co_u32_e32 v4, vcc, v6, v4
	v_addc_co_u32_e32 v5, vcc, v3, v5, vcc
	global_load_dword v4, v[4:5], off
	s_waitcnt vmcnt(0)
	v_ashrrev_i32_e32 v5, 31, v4
	v_cmp_le_i64_e32 vcc, s[10:11], v[4:5]
	v_cmp_ge_i64_e64 s[2:3], s[12:13], v[4:5]
	s_and_b64 s[2:3], vcc, s[2:3]
	s_and_saveexec_b64 s[28:29], s[2:3]
	s_cbranch_execz .LBB33_3
; %bb.12:                               ;   in Loop: Header=BB33_4 Depth=1
	v_mov_b32_e32 v3, s11
	v_subrev_co_u32_e32 v4, vcc, s10, v4
	v_subb_co_u32_e32 v3, vcc, v5, v3, vcc
	v_mul_lo_u32 v3, v3, s8
	v_mul_lo_u32 v6, v4, s9
	v_mad_u64_u32 v[4:5], s[2:3], v4, s8, 0
	v_add3_u32 v5, v5, v6, v3
	v_or_b32_e32 v3, s40, v5
	v_cmp_ne_u64_e32 vcc, 0, v[2:3]
                                        ; implicit-def: $vgpr6_vgpr7
	s_and_saveexec_b64 s[2:3], vcc
	s_xor_b64 s[30:31], exec, s[2:3]
	s_cbranch_execz .LBB33_14
; %bb.13:                               ;   in Loop: Header=BB33_4 Depth=1
	s_ashr_i32 s34, s40, 31
	s_add_u32 s2, s33, s34
	s_mov_b32 s35, s34
	s_addc_u32 s3, s40, s34
	s_xor_b64 s[36:37], s[2:3], s[34:35]
	v_cvt_f32_u32_e32 v3, s36
	v_cvt_f32_u32_e32 v6, s37
	s_sub_u32 s2, 0, s36
	s_subb_u32 s3, 0, s37
	v_mac_f32_e32 v3, 0x4f800000, v6
	v_rcp_f32_e32 v3, v3
	v_mul_f32_e32 v3, 0x5f7ffffc, v3
	v_mul_f32_e32 v6, 0x2f800000, v3
	v_trunc_f32_e32 v6, v6
	v_mac_f32_e32 v3, 0xcf800000, v6
	v_cvt_u32_f32_e32 v6, v6
	v_cvt_u32_f32_e32 v3, v3
	v_mul_lo_u32 v7, s2, v6
	v_mul_hi_u32 v9, s2, v3
	v_mul_lo_u32 v8, s3, v3
	v_add_u32_e32 v7, v9, v7
	v_mul_lo_u32 v10, s2, v3
	v_add_u32_e32 v7, v7, v8
	v_mul_lo_u32 v9, v3, v7
	v_mul_hi_u32 v11, v3, v10
	v_mul_hi_u32 v8, v3, v7
	v_add_co_u32_e32 v9, vcc, v11, v9
	v_addc_co_u32_e32 v8, vcc, 0, v8, vcc
	v_mul_hi_u32 v12, v6, v10
	v_mul_lo_u32 v10, v6, v10
	v_add_co_u32_e32 v9, vcc, v9, v10
	v_mul_hi_u32 v11, v6, v7
	v_addc_co_u32_e32 v8, vcc, v8, v12, vcc
	v_addc_co_u32_e32 v9, vcc, 0, v11, vcc
	v_mul_lo_u32 v7, v6, v7
	v_add_co_u32_e32 v7, vcc, v8, v7
	v_addc_co_u32_e32 v8, vcc, 0, v9, vcc
	v_add_co_u32_e32 v3, vcc, v3, v7
	v_addc_co_u32_e32 v6, vcc, v6, v8, vcc
	v_mul_lo_u32 v7, s2, v6
	v_mul_hi_u32 v8, s2, v3
	v_add_u32_e32 v7, v8, v7
	v_mul_lo_u32 v8, s3, v3
	v_add_u32_e32 v7, v7, v8
	v_mul_lo_u32 v9, s2, v3
	v_mul_hi_u32 v10, v6, v9
	v_mul_lo_u32 v11, v6, v9
	v_mul_lo_u32 v13, v3, v7
	v_mul_hi_u32 v9, v3, v9
	v_mul_hi_u32 v12, v3, v7
	v_add_co_u32_e32 v9, vcc, v9, v13
	v_addc_co_u32_e32 v12, vcc, 0, v12, vcc
	v_add_co_u32_e32 v9, vcc, v9, v11
	v_mul_hi_u32 v8, v6, v7
	v_addc_co_u32_e32 v9, vcc, v12, v10, vcc
	v_addc_co_u32_e32 v8, vcc, 0, v8, vcc
	v_mul_lo_u32 v7, v6, v7
	v_add_co_u32_e32 v7, vcc, v9, v7
	v_addc_co_u32_e32 v8, vcc, 0, v8, vcc
	v_add_co_u32_e32 v3, vcc, v3, v7
	v_addc_co_u32_e32 v6, vcc, v6, v8, vcc
	v_ashrrev_i32_e32 v8, 31, v5
	v_add_co_u32_e32 v4, vcc, v4, v8
	v_addc_co_u32_e32 v5, vcc, v5, v8, vcc
	v_xor_b32_e32 v10, v4, v8
	v_xor_b32_e32 v9, v5, v8
	v_mad_u64_u32 v[4:5], s[2:3], v10, v6, 0
	v_mul_hi_u32 v7, v10, v3
	v_add_co_u32_e32 v11, vcc, v7, v4
	v_addc_co_u32_e32 v12, vcc, 0, v5, vcc
	v_mad_u64_u32 v[4:5], s[2:3], v9, v6, 0
	v_mad_u64_u32 v[6:7], s[2:3], v9, v3, 0
	v_add_co_u32_e32 v3, vcc, v11, v6
	v_addc_co_u32_e32 v3, vcc, v12, v7, vcc
	v_addc_co_u32_e32 v5, vcc, 0, v5, vcc
	v_add_co_u32_e32 v3, vcc, v3, v4
	v_addc_co_u32_e32 v4, vcc, 0, v5, vcc
	v_mul_lo_u32 v6, s37, v3
	v_mul_lo_u32 v7, s36, v4
	v_mad_u64_u32 v[4:5], s[2:3], s36, v3, 0
	v_add3_u32 v5, v5, v7, v6
	v_sub_u32_e32 v6, v9, v5
	v_mov_b32_e32 v7, s37
	v_sub_co_u32_e32 v4, vcc, v10, v4
	v_subb_co_u32_e64 v6, s[2:3], v6, v7, vcc
	v_subrev_co_u32_e64 v7, s[2:3], s36, v4
	v_subbrev_co_u32_e64 v6, s[2:3], 0, v6, s[2:3]
	v_cmp_le_u32_e64 s[2:3], s37, v6
	v_subb_co_u32_e32 v5, vcc, v9, v5, vcc
	v_cndmask_b32_e64 v10, 0, -1, s[2:3]
	v_cmp_le_u32_e64 s[2:3], s36, v7
	v_cmp_le_u32_e32 vcc, s37, v5
	v_cndmask_b32_e64 v7, 0, -1, s[2:3]
	v_cmp_eq_u32_e64 s[2:3], s37, v6
	v_cndmask_b32_e64 v9, 0, -1, vcc
	v_cmp_le_u32_e32 vcc, s36, v4
	v_cndmask_b32_e64 v6, v10, v7, s[2:3]
	v_cndmask_b32_e64 v4, 0, -1, vcc
	v_cmp_eq_u32_e32 vcc, s37, v5
	v_add_co_u32_e64 v7, s[2:3], 2, v3
	v_add_co_u32_e64 v10, s[2:3], 1, v3
	v_cndmask_b32_e32 v4, v9, v4, vcc
	v_cmp_ne_u32_e32 vcc, 0, v6
	v_cndmask_b32_e32 v5, v10, v7, vcc
	v_cmp_ne_u32_e32 vcc, 0, v4
	v_cndmask_b32_e32 v3, v3, v5, vcc
	v_xor_b32_e32 v4, s34, v8
	v_xor_b32_e32 v3, v3, v4
	v_sub_co_u32_e32 v6, vcc, v3, v4
                                        ; implicit-def: $vgpr4_vgpr5
.LBB33_14:                              ;   in Loop: Header=BB33_4 Depth=1
	s_andn2_saveexec_b64 s[2:3], s[30:31]
	s_cbranch_execz .LBB33_2
; %bb.15:                               ;   in Loop: Header=BB33_4 Depth=1
	v_cvt_f32_u32_e32 v3, s33
	s_sub_i32 s30, 0, s33
	v_rcp_iflag_f32_e32 v3, v3
	v_mul_f32_e32 v3, 0x4f7ffffe, v3
	v_cvt_u32_f32_e32 v3, v3
	v_mul_lo_u32 v5, s30, v3
	v_mul_hi_u32 v5, v3, v5
	v_add_u32_e32 v3, v3, v5
	v_mul_hi_u32 v3, v4, v3
	v_mul_lo_u32 v5, v3, s33
	v_sub_u32_e32 v4, v4, v5
	v_add_u32_e32 v6, 1, v3
	v_subrev_u32_e32 v5, s33, v4
	v_cmp_le_u32_e32 vcc, s33, v4
	v_cndmask_b32_e32 v4, v4, v5, vcc
	v_cndmask_b32_e32 v3, v3, v6, vcc
	v_add_u32_e32 v5, 1, v3
	v_cmp_le_u32_e32 vcc, s33, v4
	v_cndmask_b32_e32 v6, v3, v5, vcc
	s_branch .LBB33_2
.LBB33_16:
	s_endpgm
	.section	.rodata,"a",@progbits
	.p2align	6, 0x0
	.amdhsa_kernel _ZN2at4cuda17kernelHistogram1DIdilLi1ELi2ELin1ELNS0_23CUDAHistogramMemoryTypeE1EZNS0_21CUDA_tensor_histogramIdiLb1EEEbNS_6TensorES4_S4_lNS_14AccumulateTypeIT0_Lb1EE4typeES8_NS0_13TensorArgTypeES9_S9_EUllE_EEvNS0_6detail10TensorInfoIT_T1_EESF_NSC_IKS6_SE_EElS8_S8_SE_T6_
		.amdhsa_group_segment_fixed_size 0
		.amdhsa_private_segment_fixed_size 0
		.amdhsa_kernarg_size 1952
		.amdhsa_user_sgpr_count 6
		.amdhsa_user_sgpr_private_segment_buffer 1
		.amdhsa_user_sgpr_dispatch_ptr 0
		.amdhsa_user_sgpr_queue_ptr 0
		.amdhsa_user_sgpr_kernarg_segment_ptr 1
		.amdhsa_user_sgpr_dispatch_id 0
		.amdhsa_user_sgpr_flat_scratch_init 0
		.amdhsa_user_sgpr_kernarg_preload_length 0
		.amdhsa_user_sgpr_kernarg_preload_offset 0
		.amdhsa_user_sgpr_private_segment_size 0
		.amdhsa_uses_dynamic_stack 0
		.amdhsa_system_sgpr_private_segment_wavefront_offset 0
		.amdhsa_system_sgpr_workgroup_id_x 1
		.amdhsa_system_sgpr_workgroup_id_y 0
		.amdhsa_system_sgpr_workgroup_id_z 0
		.amdhsa_system_sgpr_workgroup_info 0
		.amdhsa_system_vgpr_workitem_id 0
		.amdhsa_next_free_vgpr 18
		.amdhsa_next_free_sgpr 45
		.amdhsa_accum_offset 20
		.amdhsa_reserve_vcc 1
		.amdhsa_reserve_flat_scratch 0
		.amdhsa_float_round_mode_32 0
		.amdhsa_float_round_mode_16_64 0
		.amdhsa_float_denorm_mode_32 3
		.amdhsa_float_denorm_mode_16_64 3
		.amdhsa_dx10_clamp 1
		.amdhsa_ieee_mode 1
		.amdhsa_fp16_overflow 0
		.amdhsa_tg_split 0
		.amdhsa_exception_fp_ieee_invalid_op 0
		.amdhsa_exception_fp_denorm_src 0
		.amdhsa_exception_fp_ieee_div_zero 0
		.amdhsa_exception_fp_ieee_overflow 0
		.amdhsa_exception_fp_ieee_underflow 0
		.amdhsa_exception_fp_ieee_inexact 0
		.amdhsa_exception_int_div_zero 0
	.end_amdhsa_kernel
	.section	.text._ZN2at4cuda17kernelHistogram1DIdilLi1ELi2ELin1ELNS0_23CUDAHistogramMemoryTypeE1EZNS0_21CUDA_tensor_histogramIdiLb1EEEbNS_6TensorES4_S4_lNS_14AccumulateTypeIT0_Lb1EE4typeES8_NS0_13TensorArgTypeES9_S9_EUllE_EEvNS0_6detail10TensorInfoIT_T1_EESF_NSC_IKS6_SE_EElS8_S8_SE_T6_,"axG",@progbits,_ZN2at4cuda17kernelHistogram1DIdilLi1ELi2ELin1ELNS0_23CUDAHistogramMemoryTypeE1EZNS0_21CUDA_tensor_histogramIdiLb1EEEbNS_6TensorES4_S4_lNS_14AccumulateTypeIT0_Lb1EE4typeES8_NS0_13TensorArgTypeES9_S9_EUllE_EEvNS0_6detail10TensorInfoIT_T1_EESF_NSC_IKS6_SE_EElS8_S8_SE_T6_,comdat
.Lfunc_end33:
	.size	_ZN2at4cuda17kernelHistogram1DIdilLi1ELi2ELin1ELNS0_23CUDAHistogramMemoryTypeE1EZNS0_21CUDA_tensor_histogramIdiLb1EEEbNS_6TensorES4_S4_lNS_14AccumulateTypeIT0_Lb1EE4typeES8_NS0_13TensorArgTypeES9_S9_EUllE_EEvNS0_6detail10TensorInfoIT_T1_EESF_NSC_IKS6_SE_EElS8_S8_SE_T6_, .Lfunc_end33-_ZN2at4cuda17kernelHistogram1DIdilLi1ELi2ELin1ELNS0_23CUDAHistogramMemoryTypeE1EZNS0_21CUDA_tensor_histogramIdiLb1EEEbNS_6TensorES4_S4_lNS_14AccumulateTypeIT0_Lb1EE4typeES8_NS0_13TensorArgTypeES9_S9_EUllE_EEvNS0_6detail10TensorInfoIT_T1_EESF_NSC_IKS6_SE_EElS8_S8_SE_T6_
                                        ; -- End function
	.section	.AMDGPU.csdata,"",@progbits
; Kernel info:
; codeLenInByte = 2292
; NumSgprs: 49
; NumVgprs: 18
; NumAgprs: 0
; TotalNumVgprs: 18
; ScratchSize: 0
; MemoryBound: 0
; FloatMode: 240
; IeeeMode: 1
; LDSByteSize: 0 bytes/workgroup (compile time only)
; SGPRBlocks: 6
; VGPRBlocks: 2
; NumSGPRsForWavesPerEU: 49
; NumVGPRsForWavesPerEU: 18
; AccumOffset: 20
; Occupancy: 8
; WaveLimiterHint : 1
; COMPUTE_PGM_RSRC2:SCRATCH_EN: 0
; COMPUTE_PGM_RSRC2:USER_SGPR: 6
; COMPUTE_PGM_RSRC2:TRAP_HANDLER: 0
; COMPUTE_PGM_RSRC2:TGID_X_EN: 1
; COMPUTE_PGM_RSRC2:TGID_Y_EN: 0
; COMPUTE_PGM_RSRC2:TGID_Z_EN: 0
; COMPUTE_PGM_RSRC2:TIDIG_COMP_CNT: 0
; COMPUTE_PGM_RSRC3_GFX90A:ACCUM_OFFSET: 4
; COMPUTE_PGM_RSRC3_GFX90A:TG_SPLIT: 0
	.section	.text._ZN2at4cuda17kernelHistogram1DIdilLi1ELi2ELin1ELNS0_23CUDAHistogramMemoryTypeE0EZNS0_21CUDA_tensor_histogramIdiLb1EEEbNS_6TensorES4_S4_lNS_14AccumulateTypeIT0_Lb1EE4typeES8_NS0_13TensorArgTypeES9_S9_EUllE0_EEvNS0_6detail10TensorInfoIT_T1_EESF_NSC_IKS6_SE_EElS8_S8_SE_T6_,"axG",@progbits,_ZN2at4cuda17kernelHistogram1DIdilLi1ELi2ELin1ELNS0_23CUDAHistogramMemoryTypeE0EZNS0_21CUDA_tensor_histogramIdiLb1EEEbNS_6TensorES4_S4_lNS_14AccumulateTypeIT0_Lb1EE4typeES8_NS0_13TensorArgTypeES9_S9_EUllE0_EEvNS0_6detail10TensorInfoIT_T1_EESF_NSC_IKS6_SE_EElS8_S8_SE_T6_,comdat
	.protected	_ZN2at4cuda17kernelHistogram1DIdilLi1ELi2ELin1ELNS0_23CUDAHistogramMemoryTypeE0EZNS0_21CUDA_tensor_histogramIdiLb1EEEbNS_6TensorES4_S4_lNS_14AccumulateTypeIT0_Lb1EE4typeES8_NS0_13TensorArgTypeES9_S9_EUllE0_EEvNS0_6detail10TensorInfoIT_T1_EESF_NSC_IKS6_SE_EElS8_S8_SE_T6_ ; -- Begin function _ZN2at4cuda17kernelHistogram1DIdilLi1ELi2ELin1ELNS0_23CUDAHistogramMemoryTypeE0EZNS0_21CUDA_tensor_histogramIdiLb1EEEbNS_6TensorES4_S4_lNS_14AccumulateTypeIT0_Lb1EE4typeES8_NS0_13TensorArgTypeES9_S9_EUllE0_EEvNS0_6detail10TensorInfoIT_T1_EESF_NSC_IKS6_SE_EElS8_S8_SE_T6_
	.globl	_ZN2at4cuda17kernelHistogram1DIdilLi1ELi2ELin1ELNS0_23CUDAHistogramMemoryTypeE0EZNS0_21CUDA_tensor_histogramIdiLb1EEEbNS_6TensorES4_S4_lNS_14AccumulateTypeIT0_Lb1EE4typeES8_NS0_13TensorArgTypeES9_S9_EUllE0_EEvNS0_6detail10TensorInfoIT_T1_EESF_NSC_IKS6_SE_EElS8_S8_SE_T6_
	.p2align	8
	.type	_ZN2at4cuda17kernelHistogram1DIdilLi1ELi2ELin1ELNS0_23CUDAHistogramMemoryTypeE0EZNS0_21CUDA_tensor_histogramIdiLb1EEEbNS_6TensorES4_S4_lNS_14AccumulateTypeIT0_Lb1EE4typeES8_NS0_13TensorArgTypeES9_S9_EUllE0_EEvNS0_6detail10TensorInfoIT_T1_EESF_NSC_IKS6_SE_EElS8_S8_SE_T6_,@function
_ZN2at4cuda17kernelHistogram1DIdilLi1ELi2ELin1ELNS0_23CUDAHistogramMemoryTypeE0EZNS0_21CUDA_tensor_histogramIdiLb1EEEbNS_6TensorES4_S4_lNS_14AccumulateTypeIT0_Lb1EE4typeES8_NS0_13TensorArgTypeES9_S9_EUllE0_EEvNS0_6detail10TensorInfoIT_T1_EESF_NSC_IKS6_SE_EElS8_S8_SE_T6_: ; @_ZN2at4cuda17kernelHistogram1DIdilLi1ELi2ELin1ELNS0_23CUDAHistogramMemoryTypeE0EZNS0_21CUDA_tensor_histogramIdiLb1EEEbNS_6TensorES4_S4_lNS_14AccumulateTypeIT0_Lb1EE4typeES8_NS0_13TensorArgTypeES9_S9_EUllE0_EEvNS0_6detail10TensorInfoIT_T1_EESF_NSC_IKS6_SE_EElS8_S8_SE_T6_
; %bb.0:
	s_load_dwordx4 s[16:19], s[4:5], 0x0
	v_mov_b32_e32 v1, 0
	s_add_u32 s2, s4, 0x508
	s_addc_u32 s3, s5, 0
                                        ; implicit-def: $sgpr7
                                        ; implicit-def: $sgpr10
	s_waitcnt lgkmcnt(0)
	v_cmp_gt_i64_e64 s[0:1], s[18:19], v[0:1]
	v_cmp_le_i64_e32 vcc, s[18:19], v[0:1]
	s_and_saveexec_b64 s[8:9], vcc
	s_xor_b64 s[8:9], exec, s[8:9]
	s_cbranch_execz .LBB34_2
; %bb.1:
	s_load_dword s7, s[2:3], 0xc
	s_waitcnt lgkmcnt(0)
	s_and_b32 s10, s7, 0xffff
.LBB34_2:
	s_or_saveexec_b64 s[8:9], s[8:9]
	s_load_dwordx2 s[20:21], s[4:5], 0xd0
	v_mov_b32_e32 v7, s7
	v_mov_b32_e32 v15, s10
	v_lshl_add_u32 v14, v0, 3, 0
	s_xor_b64 exec, exec, s[8:9]
	s_cbranch_execz .LBB34_6
; %bb.3:
	s_load_dword s7, s[2:3], 0xc
	s_mov_b32 s14, 0
	v_mov_b32_e32 v2, 0
	v_lshl_add_u32 v6, v0, 3, 0
	s_mov_b64 s[10:11], 0
	s_waitcnt lgkmcnt(0)
	s_and_b32 s12, s7, 0xffff
	s_lshl_b32 s13, s12, 3
	v_mov_b32_e32 v3, v2
	v_mov_b32_e32 v7, s14
	v_pk_mov_b32 v[4:5], v[0:1], v[0:1] op_sel:[0,1]
.LBB34_4:                               ; =>This Inner Loop Header: Depth=1
	v_add_co_u32_e32 v4, vcc, s12, v4
	v_addc_co_u32_e32 v5, vcc, v5, v7, vcc
	v_cmp_le_i64_e32 vcc, s[18:19], v[4:5]
	ds_write_b64 v6, v[2:3]
	s_or_b64 s[10:11], vcc, s[10:11]
	v_add_u32_e32 v6, s13, v6
	s_andn2_b64 exec, exec, s[10:11]
	s_cbranch_execnz .LBB34_4
; %bb.5:
	s_or_b64 exec, exec, s[10:11]
	v_mov_b32_e32 v7, s7
	v_mov_b32_e32 v15, s12
.LBB34_6:
	s_or_b64 exec, exec, s[8:9]
	s_load_dwordx8 s[8:15], s[4:5], 0x4e0
	v_mad_u64_u32 v[2:3], s[6:7], s6, v15, v[0:1]
	v_mov_b32_e32 v4, 0
	v_mov_b32_e32 v3, v4
	s_waitcnt lgkmcnt(0)
	v_cmp_gt_i64_e32 vcc, s[14:15], v[2:3]
	s_barrier
	s_and_saveexec_b64 s[6:7], vcc
	s_cbranch_execz .LBB34_22
; %bb.7:
	s_load_dword s26, s[4:5], 0x4d8
	s_load_dwordx2 s[22:23], s[4:5], 0x410
	s_load_dwordx2 s[24:25], s[4:5], 0x340
	s_add_u32 s27, s4, 0x340
	s_addc_u32 s29, s5, 0
	s_waitcnt lgkmcnt(0)
	s_cmp_gt_i32 s26, 1
	s_load_dword s28, s[2:3], 0x0
	s_cselect_b64 s[2:3], -1, 0
	s_sub_u32 s33, s12, s10
	s_subb_u32 s44, s13, s11
	s_mov_b32 s5, 0
	s_add_i32 s4, s26, -1
	s_add_i32 s45, s26, 1
	s_lshl_b64 s[4:5], s[4:5], 3
	s_add_u32 s4, s4, s27
	s_addc_u32 s5, s5, s29
	s_add_u32 s26, s4, 8
	v_cndmask_b32_e64 v5, 0, 1, s[2:3]
	s_waitcnt lgkmcnt(0)
	v_mul_lo_u32 v6, s28, v15
	s_addc_u32 s27, s5, 0
	s_mov_b64 s[28:29], 0
	v_cmp_ne_u32_e64 s[2:3], 1, v5
	s_mov_b64 s[30:31], src_shared_base
	s_branch .LBB34_10
.LBB34_8:                               ;   in Loop: Header=BB34_10 Depth=1
	s_or_b64 exec, exec, s[4:5]
	v_ashrrev_i32_e32 v11, 31, v10
	v_cmp_eq_u64_e32 vcc, s[8:9], v[10:11]
	v_subbrev_co_u32_e32 v5, vcc, 0, v10, vcc
	v_mov_b32_e32 v10, 0
	v_lshl_add_u32 v8, v5, 3, 0
	v_mov_b32_e32 v9, s31
	v_mov_b32_e32 v11, 0x3ff00000
	flat_atomic_add_f64 v[8:9], v[10:11]
.LBB34_9:                               ;   in Loop: Header=BB34_10 Depth=1
	s_or_b64 exec, exec, s[34:35]
	v_add_co_u32_e32 v2, vcc, v2, v6
	v_addc_co_u32_e32 v3, vcc, 0, v3, vcc
	v_cmp_le_i64_e32 vcc, s[14:15], v[2:3]
	s_or_b64 s[28:29], vcc, s[28:29]
	s_andn2_b64 exec, exec, s[28:29]
	s_cbranch_execz .LBB34_22
.LBB34_10:                              ; =>This Loop Header: Depth=1
                                        ;     Child Loop BB34_11 Depth 2
	s_and_b64 vcc, exec, s[2:3]
	v_pk_mov_b32 v[8:9], 0, 0
	s_mov_b64 s[34:35], s[26:27]
	s_mov_b32 s30, s45
	v_pk_mov_b32 v[10:11], v[2:3], v[2:3] op_sel:[0,1]
	v_pk_mov_b32 v[12:13], v[2:3], v[2:3] op_sel:[0,1]
	s_cbranch_vccnz .LBB34_17
.LBB34_11:                              ;   Parent Loop BB34_10 Depth=1
                                        ; =>  This Inner Loop Header: Depth=2
	s_load_dwordx2 s[36:37], s[34:35], 0x0
                                        ; implicit-def: $vgpr12_vgpr13
	s_waitcnt lgkmcnt(0)
	v_or_b32_e32 v5, s37, v11
	v_cmp_ne_u64_e32 vcc, 0, v[4:5]
	s_and_saveexec_b64 s[4:5], vcc
	s_xor_b64 s[38:39], exec, s[4:5]
	s_cbranch_execz .LBB34_13
; %bb.12:                               ;   in Loop: Header=BB34_11 Depth=2
	s_ashr_i32 s40, s37, 31
	s_add_u32 s4, s36, s40
	s_mov_b32 s41, s40
	s_addc_u32 s5, s37, s40
	s_xor_b64 s[42:43], s[4:5], s[40:41]
	v_cvt_f32_u32_e32 v5, s42
	v_cvt_f32_u32_e32 v12, s43
	s_sub_u32 s4, 0, s42
	s_subb_u32 s5, 0, s43
	v_mac_f32_e32 v5, 0x4f800000, v12
	v_rcp_f32_e32 v5, v5
	v_mul_f32_e32 v5, 0x5f7ffffc, v5
	v_mul_f32_e32 v12, 0x2f800000, v5
	v_trunc_f32_e32 v12, v12
	v_mac_f32_e32 v5, 0xcf800000, v12
	v_cvt_u32_f32_e32 v12, v12
	v_cvt_u32_f32_e32 v5, v5
	v_mul_lo_u32 v13, s4, v12
	v_mul_hi_u32 v17, s4, v5
	v_mul_lo_u32 v16, s5, v5
	v_add_u32_e32 v13, v17, v13
	v_mul_lo_u32 v18, s4, v5
	v_add_u32_e32 v13, v13, v16
	v_mul_lo_u32 v17, v5, v13
	v_mul_hi_u32 v19, v5, v18
	v_mul_hi_u32 v16, v5, v13
	v_add_co_u32_e32 v17, vcc, v19, v17
	v_addc_co_u32_e32 v16, vcc, 0, v16, vcc
	v_mul_hi_u32 v20, v12, v18
	v_mul_lo_u32 v18, v12, v18
	v_add_co_u32_e32 v17, vcc, v17, v18
	v_mul_hi_u32 v19, v12, v13
	v_addc_co_u32_e32 v16, vcc, v16, v20, vcc
	v_addc_co_u32_e32 v17, vcc, 0, v19, vcc
	v_mul_lo_u32 v13, v12, v13
	v_add_co_u32_e32 v13, vcc, v16, v13
	v_addc_co_u32_e32 v16, vcc, 0, v17, vcc
	v_add_co_u32_e32 v5, vcc, v5, v13
	v_addc_co_u32_e32 v12, vcc, v12, v16, vcc
	v_mul_lo_u32 v13, s4, v12
	v_mul_hi_u32 v16, s4, v5
	v_add_u32_e32 v13, v16, v13
	v_mul_lo_u32 v16, s5, v5
	v_add_u32_e32 v13, v13, v16
	v_mul_lo_u32 v17, s4, v5
	v_mul_hi_u32 v18, v12, v17
	v_mul_lo_u32 v19, v12, v17
	v_mul_lo_u32 v21, v5, v13
	v_mul_hi_u32 v17, v5, v17
	v_mul_hi_u32 v20, v5, v13
	v_add_co_u32_e32 v17, vcc, v17, v21
	v_addc_co_u32_e32 v20, vcc, 0, v20, vcc
	v_add_co_u32_e32 v17, vcc, v17, v19
	v_mul_hi_u32 v16, v12, v13
	v_addc_co_u32_e32 v17, vcc, v20, v18, vcc
	v_addc_co_u32_e32 v16, vcc, 0, v16, vcc
	v_mul_lo_u32 v13, v12, v13
	v_add_co_u32_e32 v13, vcc, v17, v13
	v_addc_co_u32_e32 v16, vcc, 0, v16, vcc
	v_add_co_u32_e32 v5, vcc, v5, v13
	v_addc_co_u32_e32 v16, vcc, v12, v16, vcc
	v_ashrrev_i32_e32 v18, 31, v11
	v_add_co_u32_e32 v12, vcc, v10, v18
	v_addc_co_u32_e32 v13, vcc, v11, v18, vcc
	v_xor_b32_e32 v20, v12, v18
	v_xor_b32_e32 v19, v13, v18
	v_mad_u64_u32 v[12:13], s[4:5], v20, v16, 0
	v_mul_hi_u32 v17, v20, v5
	v_add_co_u32_e32 v21, vcc, v17, v12
	v_addc_co_u32_e32 v22, vcc, 0, v13, vcc
	v_mad_u64_u32 v[12:13], s[4:5], v19, v16, 0
	v_mad_u64_u32 v[16:17], s[4:5], v19, v5, 0
	v_add_co_u32_e32 v5, vcc, v21, v16
	v_addc_co_u32_e32 v5, vcc, v22, v17, vcc
	v_addc_co_u32_e32 v13, vcc, 0, v13, vcc
	v_add_co_u32_e32 v5, vcc, v5, v12
	v_addc_co_u32_e32 v16, vcc, 0, v13, vcc
	v_mul_lo_u32 v17, s43, v5
	v_mul_lo_u32 v21, s42, v16
	v_mad_u64_u32 v[12:13], s[4:5], s42, v5, 0
	v_add3_u32 v13, v13, v21, v17
	v_sub_u32_e32 v17, v19, v13
	v_mov_b32_e32 v21, s43
	v_sub_co_u32_e32 v12, vcc, v20, v12
	v_subb_co_u32_e64 v17, s[4:5], v17, v21, vcc
	v_subrev_co_u32_e64 v20, s[4:5], s42, v12
	v_subbrev_co_u32_e64 v17, s[4:5], 0, v17, s[4:5]
	v_cmp_le_u32_e64 s[4:5], s43, v17
	v_cndmask_b32_e64 v21, 0, -1, s[4:5]
	v_cmp_le_u32_e64 s[4:5], s42, v20
	v_cndmask_b32_e64 v20, 0, -1, s[4:5]
	v_cmp_eq_u32_e64 s[4:5], s43, v17
	v_cndmask_b32_e64 v17, v21, v20, s[4:5]
	v_add_co_u32_e64 v20, s[4:5], 2, v5
	v_subb_co_u32_e32 v13, vcc, v19, v13, vcc
	v_addc_co_u32_e64 v21, s[4:5], 0, v16, s[4:5]
	v_cmp_le_u32_e32 vcc, s43, v13
	v_add_co_u32_e64 v22, s[4:5], 1, v5
	v_cndmask_b32_e64 v19, 0, -1, vcc
	v_cmp_le_u32_e32 vcc, s42, v12
	v_addc_co_u32_e64 v23, s[4:5], 0, v16, s[4:5]
	v_cndmask_b32_e64 v12, 0, -1, vcc
	v_cmp_eq_u32_e32 vcc, s43, v13
	v_cmp_ne_u32_e64 s[4:5], 0, v17
	v_cndmask_b32_e32 v12, v19, v12, vcc
	v_cmp_ne_u32_e32 vcc, 0, v12
	v_cndmask_b32_e64 v13, v22, v20, s[4:5]
	v_cndmask_b32_e64 v17, v23, v21, s[4:5]
	v_cndmask_b32_e32 v5, v5, v13, vcc
	v_xor_b32_e32 v13, s40, v18
	v_cndmask_b32_e32 v12, v16, v17, vcc
	v_xor_b32_e32 v5, v5, v13
	v_xor_b32_e32 v16, v12, v13
	v_sub_co_u32_e32 v12, vcc, v5, v13
	v_subb_co_u32_e32 v13, vcc, v16, v13, vcc
.LBB34_13:                              ;   in Loop: Header=BB34_11 Depth=2
	s_andn2_saveexec_b64 s[4:5], s[38:39]
	s_cbranch_execz .LBB34_15
; %bb.14:                               ;   in Loop: Header=BB34_11 Depth=2
	v_cvt_f32_u32_e32 v5, s36
	s_sub_i32 s38, 0, s36
	v_rcp_iflag_f32_e32 v5, v5
	v_mul_f32_e32 v5, 0x4f7ffffe, v5
	v_cvt_u32_f32_e32 v5, v5
	v_mul_lo_u32 v12, s38, v5
	v_mul_hi_u32 v12, v5, v12
	v_add_u32_e32 v5, v5, v12
	v_mul_hi_u32 v5, v10, v5
	v_mul_lo_u32 v12, v5, s36
	v_sub_u32_e32 v12, v10, v12
	v_add_u32_e32 v13, 1, v5
	v_subrev_u32_e32 v16, s36, v12
	v_cmp_le_u32_e32 vcc, s36, v12
	v_cndmask_b32_e32 v12, v12, v16, vcc
	v_cndmask_b32_e32 v5, v5, v13, vcc
	v_add_u32_e32 v13, 1, v5
	v_cmp_le_u32_e32 vcc, s36, v12
	v_cndmask_b32_e32 v12, v5, v13, vcc
	v_mov_b32_e32 v13, v4
.LBB34_15:                              ;   in Loop: Header=BB34_11 Depth=2
	s_or_b64 exec, exec, s[4:5]
	v_mad_u64_u32 v[16:17], s[4:5], v12, s36, 0
	s_load_dwordx2 s[4:5], s[34:35], 0xc8
	v_mul_lo_u32 v5, v13, s36
	v_mul_lo_u32 v18, v12, s37
	v_add3_u32 v5, v17, v18, v5
	v_sub_co_u32_e32 v10, vcc, v10, v16
	s_add_i32 s30, s30, -1
	v_subb_co_u32_e32 v5, vcc, v11, v5, vcc
	s_add_u32 s34, s34, -8
	s_waitcnt lgkmcnt(0)
	v_mul_lo_u32 v5, s4, v5
	v_mul_lo_u32 v11, s5, v10
	v_mad_u64_u32 v[8:9], s[4:5], s4, v10, v[8:9]
	s_addc_u32 s35, s35, -1
	s_cmp_gt_u32 s30, 2
	v_add3_u32 v9, v11, v9, v5
	s_cbranch_scc0 .LBB34_17
; %bb.16:                               ;   in Loop: Header=BB34_11 Depth=2
	v_pk_mov_b32 v[10:11], v[12:13], v[12:13] op_sel:[0,1]
	s_branch .LBB34_11
.LBB34_17:                              ;   in Loop: Header=BB34_10 Depth=1
	v_mul_lo_u32 v5, s23, v12
	v_mul_lo_u32 v13, s22, v13
	v_mad_u64_u32 v[10:11], s[4:5], s22, v12, 0
	v_add3_u32 v11, v11, v13, v5
	v_lshlrev_b64 v[10:11], 2, v[10:11]
	v_mov_b32_e32 v5, s25
	v_add_co_u32_e32 v10, vcc, s24, v10
	v_addc_co_u32_e32 v5, vcc, v5, v11, vcc
	v_lshlrev_b64 v[8:9], 2, v[8:9]
	v_add_co_u32_e32 v8, vcc, v10, v8
	v_addc_co_u32_e32 v9, vcc, v5, v9, vcc
	global_load_dword v8, v[8:9], off
	s_waitcnt vmcnt(0)
	v_ashrrev_i32_e32 v9, 31, v8
	v_cmp_le_i64_e32 vcc, s[10:11], v[8:9]
	v_cmp_ge_i64_e64 s[4:5], s[12:13], v[8:9]
	s_and_b64 s[4:5], vcc, s[4:5]
	s_and_saveexec_b64 s[34:35], s[4:5]
	s_cbranch_execz .LBB34_9
; %bb.18:                               ;   in Loop: Header=BB34_10 Depth=1
	v_mov_b32_e32 v5, s11
	v_subrev_co_u32_e32 v8, vcc, s10, v8
	v_subb_co_u32_e32 v5, vcc, v9, v5, vcc
	v_mul_lo_u32 v5, v5, s8
	v_mul_lo_u32 v10, v8, s9
	v_mad_u64_u32 v[8:9], s[4:5], v8, s8, 0
	v_add3_u32 v9, v9, v10, v5
	v_or_b32_e32 v5, s44, v9
	v_cmp_ne_u64_e32 vcc, 0, v[4:5]
                                        ; implicit-def: $vgpr10_vgpr11
	s_and_saveexec_b64 s[4:5], vcc
	s_xor_b64 s[36:37], exec, s[4:5]
	s_cbranch_execz .LBB34_20
; %bb.19:                               ;   in Loop: Header=BB34_10 Depth=1
	s_ashr_i32 s38, s44, 31
	s_add_u32 s4, s33, s38
	s_mov_b32 s39, s38
	s_addc_u32 s5, s44, s38
	s_xor_b64 s[40:41], s[4:5], s[38:39]
	v_cvt_f32_u32_e32 v5, s40
	v_cvt_f32_u32_e32 v10, s41
	s_sub_u32 s4, 0, s40
	s_subb_u32 s5, 0, s41
	v_mac_f32_e32 v5, 0x4f800000, v10
	v_rcp_f32_e32 v5, v5
	v_mul_f32_e32 v5, 0x5f7ffffc, v5
	v_mul_f32_e32 v10, 0x2f800000, v5
	v_trunc_f32_e32 v10, v10
	v_mac_f32_e32 v5, 0xcf800000, v10
	v_cvt_u32_f32_e32 v10, v10
	v_cvt_u32_f32_e32 v5, v5
	v_mul_lo_u32 v11, s4, v10
	v_mul_hi_u32 v13, s4, v5
	v_mul_lo_u32 v12, s5, v5
	v_add_u32_e32 v11, v13, v11
	v_mul_lo_u32 v16, s4, v5
	v_add_u32_e32 v11, v11, v12
	v_mul_lo_u32 v13, v5, v11
	v_mul_hi_u32 v17, v5, v16
	v_mul_hi_u32 v12, v5, v11
	v_add_co_u32_e32 v13, vcc, v17, v13
	v_addc_co_u32_e32 v12, vcc, 0, v12, vcc
	v_mul_hi_u32 v18, v10, v16
	v_mul_lo_u32 v16, v10, v16
	v_add_co_u32_e32 v13, vcc, v13, v16
	v_mul_hi_u32 v17, v10, v11
	v_addc_co_u32_e32 v12, vcc, v12, v18, vcc
	v_addc_co_u32_e32 v13, vcc, 0, v17, vcc
	v_mul_lo_u32 v11, v10, v11
	v_add_co_u32_e32 v11, vcc, v12, v11
	v_addc_co_u32_e32 v12, vcc, 0, v13, vcc
	v_add_co_u32_e32 v5, vcc, v5, v11
	v_addc_co_u32_e32 v10, vcc, v10, v12, vcc
	v_mul_lo_u32 v11, s4, v10
	v_mul_hi_u32 v12, s4, v5
	v_add_u32_e32 v11, v12, v11
	v_mul_lo_u32 v12, s5, v5
	v_add_u32_e32 v11, v11, v12
	v_mul_lo_u32 v13, s4, v5
	v_mul_hi_u32 v16, v10, v13
	v_mul_lo_u32 v17, v10, v13
	v_mul_lo_u32 v19, v5, v11
	v_mul_hi_u32 v13, v5, v13
	v_mul_hi_u32 v18, v5, v11
	v_add_co_u32_e32 v13, vcc, v13, v19
	v_addc_co_u32_e32 v18, vcc, 0, v18, vcc
	v_add_co_u32_e32 v13, vcc, v13, v17
	v_mul_hi_u32 v12, v10, v11
	v_addc_co_u32_e32 v13, vcc, v18, v16, vcc
	v_addc_co_u32_e32 v12, vcc, 0, v12, vcc
	v_mul_lo_u32 v11, v10, v11
	v_add_co_u32_e32 v11, vcc, v13, v11
	v_addc_co_u32_e32 v12, vcc, 0, v12, vcc
	v_add_co_u32_e32 v5, vcc, v5, v11
	v_addc_co_u32_e32 v10, vcc, v10, v12, vcc
	v_ashrrev_i32_e32 v12, 31, v9
	v_add_co_u32_e32 v8, vcc, v8, v12
	v_addc_co_u32_e32 v9, vcc, v9, v12, vcc
	v_xor_b32_e32 v16, v8, v12
	v_xor_b32_e32 v13, v9, v12
	v_mad_u64_u32 v[8:9], s[4:5], v16, v10, 0
	v_mul_hi_u32 v11, v16, v5
	v_add_co_u32_e32 v17, vcc, v11, v8
	v_addc_co_u32_e32 v18, vcc, 0, v9, vcc
	v_mad_u64_u32 v[8:9], s[4:5], v13, v10, 0
	v_mad_u64_u32 v[10:11], s[4:5], v13, v5, 0
	v_add_co_u32_e32 v5, vcc, v17, v10
	v_addc_co_u32_e32 v5, vcc, v18, v11, vcc
	v_addc_co_u32_e32 v9, vcc, 0, v9, vcc
	v_add_co_u32_e32 v5, vcc, v5, v8
	v_addc_co_u32_e32 v8, vcc, 0, v9, vcc
	v_mul_lo_u32 v10, s41, v5
	v_mul_lo_u32 v11, s40, v8
	v_mad_u64_u32 v[8:9], s[4:5], s40, v5, 0
	v_add3_u32 v9, v9, v11, v10
	v_sub_u32_e32 v10, v13, v9
	v_mov_b32_e32 v11, s41
	v_sub_co_u32_e32 v8, vcc, v16, v8
	v_subb_co_u32_e64 v10, s[4:5], v10, v11, vcc
	v_subrev_co_u32_e64 v11, s[4:5], s40, v8
	v_subbrev_co_u32_e64 v10, s[4:5], 0, v10, s[4:5]
	v_cmp_le_u32_e64 s[4:5], s41, v10
	v_subb_co_u32_e32 v9, vcc, v13, v9, vcc
	v_cndmask_b32_e64 v16, 0, -1, s[4:5]
	v_cmp_le_u32_e64 s[4:5], s40, v11
	v_cmp_le_u32_e32 vcc, s41, v9
	v_cndmask_b32_e64 v11, 0, -1, s[4:5]
	v_cmp_eq_u32_e64 s[4:5], s41, v10
	v_cndmask_b32_e64 v13, 0, -1, vcc
	v_cmp_le_u32_e32 vcc, s40, v8
	v_cndmask_b32_e64 v10, v16, v11, s[4:5]
	v_cndmask_b32_e64 v8, 0, -1, vcc
	v_cmp_eq_u32_e32 vcc, s41, v9
	v_add_co_u32_e64 v11, s[4:5], 2, v5
	v_add_co_u32_e64 v16, s[4:5], 1, v5
	v_cndmask_b32_e32 v8, v13, v8, vcc
	v_cmp_ne_u32_e32 vcc, 0, v10
	v_cndmask_b32_e32 v9, v16, v11, vcc
	v_cmp_ne_u32_e32 vcc, 0, v8
	v_cndmask_b32_e32 v5, v5, v9, vcc
	v_xor_b32_e32 v8, s38, v12
	v_xor_b32_e32 v5, v5, v8
	v_sub_co_u32_e32 v10, vcc, v5, v8
                                        ; implicit-def: $vgpr8_vgpr9
.LBB34_20:                              ;   in Loop: Header=BB34_10 Depth=1
	s_andn2_saveexec_b64 s[4:5], s[36:37]
	s_cbranch_execz .LBB34_8
; %bb.21:                               ;   in Loop: Header=BB34_10 Depth=1
	v_cvt_f32_u32_e32 v5, s33
	s_sub_i32 s30, 0, s33
	v_rcp_iflag_f32_e32 v5, v5
	v_mul_f32_e32 v5, 0x4f7ffffe, v5
	v_cvt_u32_f32_e32 v5, v5
	v_mul_lo_u32 v9, s30, v5
	v_mul_hi_u32 v9, v5, v9
	v_add_u32_e32 v5, v5, v9
	v_mul_hi_u32 v5, v8, v5
	v_mul_lo_u32 v9, v5, s33
	v_sub_u32_e32 v8, v8, v9
	v_add_u32_e32 v10, 1, v5
	v_subrev_u32_e32 v9, s33, v8
	v_cmp_le_u32_e32 vcc, s33, v8
	v_cndmask_b32_e32 v8, v8, v9, vcc
	v_cndmask_b32_e32 v5, v5, v10, vcc
	v_add_u32_e32 v9, 1, v5
	v_cmp_le_u32_e32 vcc, s33, v8
	v_cndmask_b32_e32 v10, v5, v9, vcc
	s_branch .LBB34_8
.LBB34_22:
	s_or_b64 exec, exec, s[6:7]
; %bb.23:
	s_waitcnt lgkmcnt(0)
	s_barrier
	s_and_saveexec_b64 s[2:3], s[0:1]
	s_cbranch_execz .LBB34_26
; %bb.24:
	v_mad_u64_u32 v[4:5], s[0:1], s20, v0, 0
	v_mov_b32_e32 v6, v5
	v_and_b32_e32 v2, 0xffff, v7
	v_mad_u64_u32 v[6:7], s[0:1], s21, v0, v[6:7]
	v_mov_b32_e32 v5, v6
	v_mad_u64_u32 v[6:7], s[0:1], s20, v2, 0
	v_mov_b32_e32 v8, v7
	v_lshlrev_b64 v[4:5], 3, v[4:5]
	v_mad_u64_u32 v[8:9], s[0:1], s21, v2, v[8:9]
	v_mov_b32_e32 v3, s17
	v_add_co_u32_e32 v4, vcc, s16, v4
	v_mov_b32_e32 v7, v8
	v_addc_co_u32_e32 v5, vcc, v3, v5, vcc
	v_lshlrev_b64 v[6:7], 3, v[6:7]
	v_lshlrev_b32_e32 v3, 3, v15
	s_mov_b64 s[0:1], 0
.LBB34_25:                              ; =>This Inner Loop Header: Depth=1
	ds_read_b64 v[8:9], v14
	v_add_co_u32_e32 v0, vcc, v0, v2
	v_addc_co_u32_e32 v1, vcc, 0, v1, vcc
	s_waitcnt lgkmcnt(0)
	global_atomic_add_f64 v[4:5], v[8:9], off
	v_cmp_le_i64_e32 vcc, s[18:19], v[0:1]
	s_or_b64 s[0:1], vcc, s[0:1]
	v_add_co_u32_e32 v4, vcc, v4, v6
	v_add_u32_e32 v14, v14, v3
	v_addc_co_u32_e32 v5, vcc, v5, v7, vcc
	s_andn2_b64 exec, exec, s[0:1]
	s_cbranch_execnz .LBB34_25
.LBB34_26:
	s_endpgm
	.section	.rodata,"a",@progbits
	.p2align	6, 0x0
	.amdhsa_kernel _ZN2at4cuda17kernelHistogram1DIdilLi1ELi2ELin1ELNS0_23CUDAHistogramMemoryTypeE0EZNS0_21CUDA_tensor_histogramIdiLb1EEEbNS_6TensorES4_S4_lNS_14AccumulateTypeIT0_Lb1EE4typeES8_NS0_13TensorArgTypeES9_S9_EUllE0_EEvNS0_6detail10TensorInfoIT_T1_EESF_NSC_IKS6_SE_EElS8_S8_SE_T6_
		.amdhsa_group_segment_fixed_size 0
		.amdhsa_private_segment_fixed_size 0
		.amdhsa_kernarg_size 1544
		.amdhsa_user_sgpr_count 6
		.amdhsa_user_sgpr_private_segment_buffer 1
		.amdhsa_user_sgpr_dispatch_ptr 0
		.amdhsa_user_sgpr_queue_ptr 0
		.amdhsa_user_sgpr_kernarg_segment_ptr 1
		.amdhsa_user_sgpr_dispatch_id 0
		.amdhsa_user_sgpr_flat_scratch_init 0
		.amdhsa_user_sgpr_kernarg_preload_length 0
		.amdhsa_user_sgpr_kernarg_preload_offset 0
		.amdhsa_user_sgpr_private_segment_size 0
		.amdhsa_uses_dynamic_stack 0
		.amdhsa_system_sgpr_private_segment_wavefront_offset 0
		.amdhsa_system_sgpr_workgroup_id_x 1
		.amdhsa_system_sgpr_workgroup_id_y 0
		.amdhsa_system_sgpr_workgroup_id_z 0
		.amdhsa_system_sgpr_workgroup_info 0
		.amdhsa_system_vgpr_workitem_id 0
		.amdhsa_next_free_vgpr 24
		.amdhsa_next_free_sgpr 46
		.amdhsa_accum_offset 24
		.amdhsa_reserve_vcc 1
		.amdhsa_reserve_flat_scratch 0
		.amdhsa_float_round_mode_32 0
		.amdhsa_float_round_mode_16_64 0
		.amdhsa_float_denorm_mode_32 3
		.amdhsa_float_denorm_mode_16_64 3
		.amdhsa_dx10_clamp 1
		.amdhsa_ieee_mode 1
		.amdhsa_fp16_overflow 0
		.amdhsa_tg_split 0
		.amdhsa_exception_fp_ieee_invalid_op 0
		.amdhsa_exception_fp_denorm_src 0
		.amdhsa_exception_fp_ieee_div_zero 0
		.amdhsa_exception_fp_ieee_overflow 0
		.amdhsa_exception_fp_ieee_underflow 0
		.amdhsa_exception_fp_ieee_inexact 0
		.amdhsa_exception_int_div_zero 0
	.end_amdhsa_kernel
	.section	.text._ZN2at4cuda17kernelHistogram1DIdilLi1ELi2ELin1ELNS0_23CUDAHistogramMemoryTypeE0EZNS0_21CUDA_tensor_histogramIdiLb1EEEbNS_6TensorES4_S4_lNS_14AccumulateTypeIT0_Lb1EE4typeES8_NS0_13TensorArgTypeES9_S9_EUllE0_EEvNS0_6detail10TensorInfoIT_T1_EESF_NSC_IKS6_SE_EElS8_S8_SE_T6_,"axG",@progbits,_ZN2at4cuda17kernelHistogram1DIdilLi1ELi2ELin1ELNS0_23CUDAHistogramMemoryTypeE0EZNS0_21CUDA_tensor_histogramIdiLb1EEEbNS_6TensorES4_S4_lNS_14AccumulateTypeIT0_Lb1EE4typeES8_NS0_13TensorArgTypeES9_S9_EUllE0_EEvNS0_6detail10TensorInfoIT_T1_EESF_NSC_IKS6_SE_EElS8_S8_SE_T6_,comdat
.Lfunc_end34:
	.size	_ZN2at4cuda17kernelHistogram1DIdilLi1ELi2ELin1ELNS0_23CUDAHistogramMemoryTypeE0EZNS0_21CUDA_tensor_histogramIdiLb1EEEbNS_6TensorES4_S4_lNS_14AccumulateTypeIT0_Lb1EE4typeES8_NS0_13TensorArgTypeES9_S9_EUllE0_EEvNS0_6detail10TensorInfoIT_T1_EESF_NSC_IKS6_SE_EElS8_S8_SE_T6_, .Lfunc_end34-_ZN2at4cuda17kernelHistogram1DIdilLi1ELi2ELin1ELNS0_23CUDAHistogramMemoryTypeE0EZNS0_21CUDA_tensor_histogramIdiLb1EEEbNS_6TensorES4_S4_lNS_14AccumulateTypeIT0_Lb1EE4typeES8_NS0_13TensorArgTypeES9_S9_EUllE0_EEvNS0_6detail10TensorInfoIT_T1_EESF_NSC_IKS6_SE_EElS8_S8_SE_T6_
                                        ; -- End function
	.section	.AMDGPU.csdata,"",@progbits
; Kernel info:
; codeLenInByte = 2520
; NumSgprs: 50
; NumVgprs: 24
; NumAgprs: 0
; TotalNumVgprs: 24
; ScratchSize: 0
; MemoryBound: 0
; FloatMode: 240
; IeeeMode: 1
; LDSByteSize: 0 bytes/workgroup (compile time only)
; SGPRBlocks: 6
; VGPRBlocks: 2
; NumSGPRsForWavesPerEU: 50
; NumVGPRsForWavesPerEU: 24
; AccumOffset: 24
; Occupancy: 8
; WaveLimiterHint : 1
; COMPUTE_PGM_RSRC2:SCRATCH_EN: 0
; COMPUTE_PGM_RSRC2:USER_SGPR: 6
; COMPUTE_PGM_RSRC2:TRAP_HANDLER: 0
; COMPUTE_PGM_RSRC2:TGID_X_EN: 1
; COMPUTE_PGM_RSRC2:TGID_Y_EN: 0
; COMPUTE_PGM_RSRC2:TGID_Z_EN: 0
; COMPUTE_PGM_RSRC2:TIDIG_COMP_CNT: 0
; COMPUTE_PGM_RSRC3_GFX90A:ACCUM_OFFSET: 5
; COMPUTE_PGM_RSRC3_GFX90A:TG_SPLIT: 0
	.section	.text._ZN2at4cuda17kernelHistogram1DIdilLi1ELi2ELin1ELNS0_23CUDAHistogramMemoryTypeE1EZNS0_21CUDA_tensor_histogramIdiLb1EEEbNS_6TensorES4_S4_lNS_14AccumulateTypeIT0_Lb1EE4typeES8_NS0_13TensorArgTypeES9_S9_EUllE0_EEvNS0_6detail10TensorInfoIT_T1_EESF_NSC_IKS6_SE_EElS8_S8_SE_T6_,"axG",@progbits,_ZN2at4cuda17kernelHistogram1DIdilLi1ELi2ELin1ELNS0_23CUDAHistogramMemoryTypeE1EZNS0_21CUDA_tensor_histogramIdiLb1EEEbNS_6TensorES4_S4_lNS_14AccumulateTypeIT0_Lb1EE4typeES8_NS0_13TensorArgTypeES9_S9_EUllE0_EEvNS0_6detail10TensorInfoIT_T1_EESF_NSC_IKS6_SE_EElS8_S8_SE_T6_,comdat
	.protected	_ZN2at4cuda17kernelHistogram1DIdilLi1ELi2ELin1ELNS0_23CUDAHistogramMemoryTypeE1EZNS0_21CUDA_tensor_histogramIdiLb1EEEbNS_6TensorES4_S4_lNS_14AccumulateTypeIT0_Lb1EE4typeES8_NS0_13TensorArgTypeES9_S9_EUllE0_EEvNS0_6detail10TensorInfoIT_T1_EESF_NSC_IKS6_SE_EElS8_S8_SE_T6_ ; -- Begin function _ZN2at4cuda17kernelHistogram1DIdilLi1ELi2ELin1ELNS0_23CUDAHistogramMemoryTypeE1EZNS0_21CUDA_tensor_histogramIdiLb1EEEbNS_6TensorES4_S4_lNS_14AccumulateTypeIT0_Lb1EE4typeES8_NS0_13TensorArgTypeES9_S9_EUllE0_EEvNS0_6detail10TensorInfoIT_T1_EESF_NSC_IKS6_SE_EElS8_S8_SE_T6_
	.globl	_ZN2at4cuda17kernelHistogram1DIdilLi1ELi2ELin1ELNS0_23CUDAHistogramMemoryTypeE1EZNS0_21CUDA_tensor_histogramIdiLb1EEEbNS_6TensorES4_S4_lNS_14AccumulateTypeIT0_Lb1EE4typeES8_NS0_13TensorArgTypeES9_S9_EUllE0_EEvNS0_6detail10TensorInfoIT_T1_EESF_NSC_IKS6_SE_EElS8_S8_SE_T6_
	.p2align	8
	.type	_ZN2at4cuda17kernelHistogram1DIdilLi1ELi2ELin1ELNS0_23CUDAHistogramMemoryTypeE1EZNS0_21CUDA_tensor_histogramIdiLb1EEEbNS_6TensorES4_S4_lNS_14AccumulateTypeIT0_Lb1EE4typeES8_NS0_13TensorArgTypeES9_S9_EUllE0_EEvNS0_6detail10TensorInfoIT_T1_EESF_NSC_IKS6_SE_EElS8_S8_SE_T6_,@function
_ZN2at4cuda17kernelHistogram1DIdilLi1ELi2ELin1ELNS0_23CUDAHistogramMemoryTypeE1EZNS0_21CUDA_tensor_histogramIdiLb1EEEbNS_6TensorES4_S4_lNS_14AccumulateTypeIT0_Lb1EE4typeES8_NS0_13TensorArgTypeES9_S9_EUllE0_EEvNS0_6detail10TensorInfoIT_T1_EESF_NSC_IKS6_SE_EElS8_S8_SE_T6_: ; @_ZN2at4cuda17kernelHistogram1DIdilLi1ELi2ELin1ELNS0_23CUDAHistogramMemoryTypeE1EZNS0_21CUDA_tensor_histogramIdiLb1EEEbNS_6TensorES4_S4_lNS_14AccumulateTypeIT0_Lb1EE4typeES8_NS0_13TensorArgTypeES9_S9_EUllE0_EEvNS0_6detail10TensorInfoIT_T1_EESF_NSC_IKS6_SE_EElS8_S8_SE_T6_
; %bb.0:
	s_load_dword s2, s[4:5], 0x514
	s_load_dwordx8 s[8:15], s[4:5], 0x4e0
	s_add_u32 s0, s4, 0x508
	s_addc_u32 s1, s5, 0
	v_mov_b32_e32 v2, 0
	s_waitcnt lgkmcnt(0)
	s_and_b32 s2, s2, 0xffff
	s_mul_i32 s6, s6, s2
	v_add_u32_e32 v0, s6, v0
	v_mov_b32_e32 v1, v2
	v_cmp_gt_i64_e32 vcc, s[14:15], v[0:1]
	s_and_saveexec_b64 s[6:7], vcc
	s_cbranch_execz .LBB35_16
; %bb.1:
	s_load_dword s3, s[4:5], 0x4d8
	s_load_dwordx2 s[6:7], s[4:5], 0x0
	s_load_dwordx2 s[16:17], s[4:5], 0xd0
	s_load_dword s24, s[0:1], 0x0
	s_add_u32 s22, s4, 0x340
	s_addc_u32 s23, s5, 0
	s_mov_b32 s38, 0
	s_waitcnt lgkmcnt(0)
	s_cmp_gt_i32 s3, 1
	s_cselect_b64 s[0:1], -1, 0
	s_sub_u32 s33, s12, s10
	s_subb_u32 s36, s13, s11
	s_mul_i32 s37, s24, s2
	s_add_i32 s39, s3, 1
	s_add_i32 s2, s3, -1
	s_mov_b32 s3, s38
	s_load_dwordx2 s[18:19], s[4:5], 0x410
	s_load_dwordx2 s[20:21], s[4:5], 0x340
	s_lshl_b64 s[2:3], s[2:3], 3
	s_add_u32 s2, s2, s22
	s_addc_u32 s3, s3, s23
	s_add_u32 s4, s2, 8
	v_cndmask_b32_e64 v3, 0, 1, s[0:1]
	s_addc_u32 s5, s3, 0
	s_mov_b64 s[22:23], 0
	v_cmp_ne_u32_e64 s[0:1], 1, v3
	s_branch .LBB35_4
.LBB35_2:                               ;   in Loop: Header=BB35_4 Depth=1
	s_or_b64 exec, exec, s[2:3]
	v_ashrrev_i32_e32 v7, 31, v6
	v_cmp_eq_u64_e32 vcc, s[8:9], v[6:7]
	v_cndmask_b32_e64 v3, 0, 1, vcc
	v_sub_co_u32_e32 v3, vcc, v6, v3
	v_subbrev_co_u32_e32 v4, vcc, 0, v7, vcc
	v_mul_lo_u32 v6, v4, s16
	v_mul_lo_u32 v7, v3, s17
	v_mad_u64_u32 v[4:5], s[2:3], v3, s16, 0
	v_add3_u32 v5, v5, v7, v6
	v_lshlrev_b64 v[4:5], 3, v[4:5]
	v_mov_b32_e32 v3, s7
	v_add_co_u32_e32 v4, vcc, s6, v4
	v_mov_b32_e32 v6, 0
	v_addc_co_u32_e32 v5, vcc, v3, v5, vcc
	v_mov_b32_e32 v7, 0x3ff00000
	global_atomic_add_f64 v[4:5], v[6:7], off
.LBB35_3:                               ;   in Loop: Header=BB35_4 Depth=1
	s_or_b64 exec, exec, s[24:25]
	v_mov_b32_e32 v3, s38
	v_add_co_u32_e32 v0, vcc, s37, v0
	v_addc_co_u32_e32 v1, vcc, v1, v3, vcc
	v_cmp_le_i64_e32 vcc, s[14:15], v[0:1]
	s_or_b64 s[22:23], vcc, s[22:23]
	s_andn2_b64 exec, exec, s[22:23]
	s_cbranch_execz .LBB35_16
.LBB35_4:                               ; =>This Loop Header: Depth=1
                                        ;     Child Loop BB35_5 Depth 2
	s_and_b64 vcc, exec, s[0:1]
	v_pk_mov_b32 v[4:5], 0, 0
	s_mov_b64 s[24:25], s[4:5]
	s_mov_b32 s40, s39
	v_pk_mov_b32 v[6:7], v[0:1], v[0:1] op_sel:[0,1]
	v_pk_mov_b32 v[8:9], v[0:1], v[0:1] op_sel:[0,1]
	s_cbranch_vccnz .LBB35_11
.LBB35_5:                               ;   Parent Loop BB35_4 Depth=1
                                        ; =>  This Inner Loop Header: Depth=2
	s_load_dwordx2 s[26:27], s[24:25], 0x0
                                        ; implicit-def: $vgpr8_vgpr9
	s_waitcnt lgkmcnt(0)
	v_or_b32_e32 v3, s27, v7
	v_cmp_ne_u64_e32 vcc, 0, v[2:3]
	s_and_saveexec_b64 s[2:3], vcc
	s_xor_b64 s[28:29], exec, s[2:3]
	s_cbranch_execz .LBB35_7
; %bb.6:                                ;   in Loop: Header=BB35_5 Depth=2
	s_ashr_i32 s30, s27, 31
	s_add_u32 s2, s26, s30
	s_mov_b32 s31, s30
	s_addc_u32 s3, s27, s30
	s_xor_b64 s[34:35], s[2:3], s[30:31]
	v_cvt_f32_u32_e32 v3, s34
	v_cvt_f32_u32_e32 v8, s35
	s_sub_u32 s2, 0, s34
	s_subb_u32 s3, 0, s35
	v_mac_f32_e32 v3, 0x4f800000, v8
	v_rcp_f32_e32 v3, v3
	v_mul_f32_e32 v3, 0x5f7ffffc, v3
	v_mul_f32_e32 v8, 0x2f800000, v3
	v_trunc_f32_e32 v8, v8
	v_mac_f32_e32 v3, 0xcf800000, v8
	v_cvt_u32_f32_e32 v8, v8
	v_cvt_u32_f32_e32 v3, v3
	v_mul_lo_u32 v9, s2, v8
	v_mul_hi_u32 v11, s2, v3
	v_mul_lo_u32 v10, s3, v3
	v_add_u32_e32 v9, v11, v9
	v_mul_lo_u32 v12, s2, v3
	v_add_u32_e32 v9, v9, v10
	v_mul_lo_u32 v11, v3, v9
	v_mul_hi_u32 v13, v3, v12
	v_mul_hi_u32 v10, v3, v9
	v_add_co_u32_e32 v11, vcc, v13, v11
	v_addc_co_u32_e32 v10, vcc, 0, v10, vcc
	v_mul_hi_u32 v14, v8, v12
	v_mul_lo_u32 v12, v8, v12
	v_add_co_u32_e32 v11, vcc, v11, v12
	v_mul_hi_u32 v13, v8, v9
	v_addc_co_u32_e32 v10, vcc, v10, v14, vcc
	v_addc_co_u32_e32 v11, vcc, 0, v13, vcc
	v_mul_lo_u32 v9, v8, v9
	v_add_co_u32_e32 v9, vcc, v10, v9
	v_addc_co_u32_e32 v10, vcc, 0, v11, vcc
	v_add_co_u32_e32 v3, vcc, v3, v9
	v_addc_co_u32_e32 v8, vcc, v8, v10, vcc
	v_mul_lo_u32 v9, s2, v8
	v_mul_hi_u32 v10, s2, v3
	v_add_u32_e32 v9, v10, v9
	v_mul_lo_u32 v10, s3, v3
	v_add_u32_e32 v9, v9, v10
	v_mul_lo_u32 v11, s2, v3
	v_mul_hi_u32 v12, v8, v11
	v_mul_lo_u32 v13, v8, v11
	v_mul_lo_u32 v15, v3, v9
	v_mul_hi_u32 v11, v3, v11
	v_mul_hi_u32 v14, v3, v9
	v_add_co_u32_e32 v11, vcc, v11, v15
	v_addc_co_u32_e32 v14, vcc, 0, v14, vcc
	v_add_co_u32_e32 v11, vcc, v11, v13
	v_mul_hi_u32 v10, v8, v9
	v_addc_co_u32_e32 v11, vcc, v14, v12, vcc
	v_addc_co_u32_e32 v10, vcc, 0, v10, vcc
	v_mul_lo_u32 v9, v8, v9
	v_add_co_u32_e32 v9, vcc, v11, v9
	v_addc_co_u32_e32 v10, vcc, 0, v10, vcc
	v_add_co_u32_e32 v3, vcc, v3, v9
	v_addc_co_u32_e32 v10, vcc, v8, v10, vcc
	v_ashrrev_i32_e32 v12, 31, v7
	v_add_co_u32_e32 v8, vcc, v6, v12
	v_addc_co_u32_e32 v9, vcc, v7, v12, vcc
	v_xor_b32_e32 v14, v8, v12
	v_xor_b32_e32 v13, v9, v12
	v_mad_u64_u32 v[8:9], s[2:3], v14, v10, 0
	v_mul_hi_u32 v11, v14, v3
	v_add_co_u32_e32 v15, vcc, v11, v8
	v_addc_co_u32_e32 v16, vcc, 0, v9, vcc
	v_mad_u64_u32 v[8:9], s[2:3], v13, v10, 0
	v_mad_u64_u32 v[10:11], s[2:3], v13, v3, 0
	v_add_co_u32_e32 v3, vcc, v15, v10
	v_addc_co_u32_e32 v3, vcc, v16, v11, vcc
	v_addc_co_u32_e32 v9, vcc, 0, v9, vcc
	v_add_co_u32_e32 v3, vcc, v3, v8
	v_addc_co_u32_e32 v10, vcc, 0, v9, vcc
	v_mul_lo_u32 v11, s35, v3
	v_mul_lo_u32 v15, s34, v10
	v_mad_u64_u32 v[8:9], s[2:3], s34, v3, 0
	v_add3_u32 v9, v9, v15, v11
	v_sub_u32_e32 v11, v13, v9
	v_mov_b32_e32 v15, s35
	v_sub_co_u32_e32 v8, vcc, v14, v8
	v_subb_co_u32_e64 v11, s[2:3], v11, v15, vcc
	v_subrev_co_u32_e64 v14, s[2:3], s34, v8
	v_subbrev_co_u32_e64 v11, s[2:3], 0, v11, s[2:3]
	v_cmp_le_u32_e64 s[2:3], s35, v11
	v_cndmask_b32_e64 v15, 0, -1, s[2:3]
	v_cmp_le_u32_e64 s[2:3], s34, v14
	v_cndmask_b32_e64 v14, 0, -1, s[2:3]
	v_cmp_eq_u32_e64 s[2:3], s35, v11
	v_cndmask_b32_e64 v11, v15, v14, s[2:3]
	v_add_co_u32_e64 v14, s[2:3], 2, v3
	v_subb_co_u32_e32 v9, vcc, v13, v9, vcc
	v_addc_co_u32_e64 v15, s[2:3], 0, v10, s[2:3]
	v_cmp_le_u32_e32 vcc, s35, v9
	v_add_co_u32_e64 v16, s[2:3], 1, v3
	v_cndmask_b32_e64 v13, 0, -1, vcc
	v_cmp_le_u32_e32 vcc, s34, v8
	v_addc_co_u32_e64 v17, s[2:3], 0, v10, s[2:3]
	v_cndmask_b32_e64 v8, 0, -1, vcc
	v_cmp_eq_u32_e32 vcc, s35, v9
	v_cmp_ne_u32_e64 s[2:3], 0, v11
	v_cndmask_b32_e32 v8, v13, v8, vcc
	v_cmp_ne_u32_e32 vcc, 0, v8
	v_cndmask_b32_e64 v9, v16, v14, s[2:3]
	v_cndmask_b32_e64 v11, v17, v15, s[2:3]
	v_cndmask_b32_e32 v3, v3, v9, vcc
	v_xor_b32_e32 v9, s30, v12
	v_cndmask_b32_e32 v8, v10, v11, vcc
	v_xor_b32_e32 v3, v3, v9
	v_xor_b32_e32 v10, v8, v9
	v_sub_co_u32_e32 v8, vcc, v3, v9
	v_subb_co_u32_e32 v9, vcc, v10, v9, vcc
.LBB35_7:                               ;   in Loop: Header=BB35_5 Depth=2
	s_andn2_saveexec_b64 s[2:3], s[28:29]
	s_cbranch_execz .LBB35_9
; %bb.8:                                ;   in Loop: Header=BB35_5 Depth=2
	v_cvt_f32_u32_e32 v3, s26
	s_sub_i32 s28, 0, s26
	v_rcp_iflag_f32_e32 v3, v3
	v_mul_f32_e32 v3, 0x4f7ffffe, v3
	v_cvt_u32_f32_e32 v3, v3
	v_mul_lo_u32 v8, s28, v3
	v_mul_hi_u32 v8, v3, v8
	v_add_u32_e32 v3, v3, v8
	v_mul_hi_u32 v3, v6, v3
	v_mul_lo_u32 v8, v3, s26
	v_sub_u32_e32 v8, v6, v8
	v_add_u32_e32 v9, 1, v3
	v_subrev_u32_e32 v10, s26, v8
	v_cmp_le_u32_e32 vcc, s26, v8
	v_cndmask_b32_e32 v8, v8, v10, vcc
	v_cndmask_b32_e32 v3, v3, v9, vcc
	v_add_u32_e32 v9, 1, v3
	v_cmp_le_u32_e32 vcc, s26, v8
	v_cndmask_b32_e32 v8, v3, v9, vcc
	v_mov_b32_e32 v9, v2
.LBB35_9:                               ;   in Loop: Header=BB35_5 Depth=2
	s_or_b64 exec, exec, s[2:3]
	v_mad_u64_u32 v[10:11], s[2:3], v8, s26, 0
	s_load_dwordx2 s[2:3], s[24:25], 0xc8
	v_mul_lo_u32 v3, v9, s26
	v_mul_lo_u32 v12, v8, s27
	v_add3_u32 v3, v11, v12, v3
	v_sub_co_u32_e32 v6, vcc, v6, v10
	s_add_i32 s40, s40, -1
	v_subb_co_u32_e32 v3, vcc, v7, v3, vcc
	s_add_u32 s24, s24, -8
	s_waitcnt lgkmcnt(0)
	v_mul_lo_u32 v3, s2, v3
	v_mul_lo_u32 v7, s3, v6
	v_mad_u64_u32 v[4:5], s[2:3], s2, v6, v[4:5]
	s_addc_u32 s25, s25, -1
	s_cmp_gt_u32 s40, 2
	v_add3_u32 v5, v7, v5, v3
	s_cbranch_scc0 .LBB35_11
; %bb.10:                               ;   in Loop: Header=BB35_5 Depth=2
	v_pk_mov_b32 v[6:7], v[8:9], v[8:9] op_sel:[0,1]
	s_branch .LBB35_5
.LBB35_11:                              ;   in Loop: Header=BB35_4 Depth=1
	s_waitcnt lgkmcnt(0)
	v_mul_lo_u32 v3, s19, v8
	v_mul_lo_u32 v9, s18, v9
	v_mad_u64_u32 v[6:7], s[2:3], s18, v8, 0
	v_add3_u32 v7, v7, v9, v3
	v_lshlrev_b64 v[6:7], 2, v[6:7]
	v_mov_b32_e32 v3, s21
	v_add_co_u32_e32 v6, vcc, s20, v6
	v_addc_co_u32_e32 v3, vcc, v3, v7, vcc
	v_lshlrev_b64 v[4:5], 2, v[4:5]
	v_add_co_u32_e32 v4, vcc, v6, v4
	v_addc_co_u32_e32 v5, vcc, v3, v5, vcc
	global_load_dword v4, v[4:5], off
	s_waitcnt vmcnt(0)
	v_ashrrev_i32_e32 v5, 31, v4
	v_cmp_le_i64_e32 vcc, s[10:11], v[4:5]
	v_cmp_ge_i64_e64 s[2:3], s[12:13], v[4:5]
	s_and_b64 s[2:3], vcc, s[2:3]
	s_and_saveexec_b64 s[24:25], s[2:3]
	s_cbranch_execz .LBB35_3
; %bb.12:                               ;   in Loop: Header=BB35_4 Depth=1
	v_mov_b32_e32 v3, s11
	v_subrev_co_u32_e32 v4, vcc, s10, v4
	v_subb_co_u32_e32 v3, vcc, v5, v3, vcc
	v_mul_lo_u32 v3, v3, s8
	v_mul_lo_u32 v6, v4, s9
	v_mad_u64_u32 v[4:5], s[2:3], v4, s8, 0
	v_add3_u32 v5, v5, v6, v3
	v_or_b32_e32 v3, s36, v5
	v_cmp_ne_u64_e32 vcc, 0, v[2:3]
                                        ; implicit-def: $vgpr6_vgpr7
	s_and_saveexec_b64 s[2:3], vcc
	s_xor_b64 s[26:27], exec, s[2:3]
	s_cbranch_execz .LBB35_14
; %bb.13:                               ;   in Loop: Header=BB35_4 Depth=1
	s_ashr_i32 s28, s36, 31
	s_add_u32 s2, s33, s28
	s_mov_b32 s29, s28
	s_addc_u32 s3, s36, s28
	s_xor_b64 s[30:31], s[2:3], s[28:29]
	v_cvt_f32_u32_e32 v3, s30
	v_cvt_f32_u32_e32 v6, s31
	s_sub_u32 s2, 0, s30
	s_subb_u32 s3, 0, s31
	v_mac_f32_e32 v3, 0x4f800000, v6
	v_rcp_f32_e32 v3, v3
	v_mul_f32_e32 v3, 0x5f7ffffc, v3
	v_mul_f32_e32 v6, 0x2f800000, v3
	v_trunc_f32_e32 v6, v6
	v_mac_f32_e32 v3, 0xcf800000, v6
	v_cvt_u32_f32_e32 v6, v6
	v_cvt_u32_f32_e32 v3, v3
	v_mul_lo_u32 v7, s2, v6
	v_mul_hi_u32 v9, s2, v3
	v_mul_lo_u32 v8, s3, v3
	v_add_u32_e32 v7, v9, v7
	v_mul_lo_u32 v10, s2, v3
	v_add_u32_e32 v7, v7, v8
	v_mul_lo_u32 v9, v3, v7
	v_mul_hi_u32 v11, v3, v10
	v_mul_hi_u32 v8, v3, v7
	v_add_co_u32_e32 v9, vcc, v11, v9
	v_addc_co_u32_e32 v8, vcc, 0, v8, vcc
	v_mul_hi_u32 v12, v6, v10
	v_mul_lo_u32 v10, v6, v10
	v_add_co_u32_e32 v9, vcc, v9, v10
	v_mul_hi_u32 v11, v6, v7
	v_addc_co_u32_e32 v8, vcc, v8, v12, vcc
	v_addc_co_u32_e32 v9, vcc, 0, v11, vcc
	v_mul_lo_u32 v7, v6, v7
	v_add_co_u32_e32 v7, vcc, v8, v7
	v_addc_co_u32_e32 v8, vcc, 0, v9, vcc
	v_add_co_u32_e32 v3, vcc, v3, v7
	v_addc_co_u32_e32 v6, vcc, v6, v8, vcc
	v_mul_lo_u32 v7, s2, v6
	v_mul_hi_u32 v8, s2, v3
	v_add_u32_e32 v7, v8, v7
	v_mul_lo_u32 v8, s3, v3
	v_add_u32_e32 v7, v7, v8
	v_mul_lo_u32 v9, s2, v3
	v_mul_hi_u32 v10, v6, v9
	v_mul_lo_u32 v11, v6, v9
	v_mul_lo_u32 v13, v3, v7
	v_mul_hi_u32 v9, v3, v9
	v_mul_hi_u32 v12, v3, v7
	v_add_co_u32_e32 v9, vcc, v9, v13
	v_addc_co_u32_e32 v12, vcc, 0, v12, vcc
	v_add_co_u32_e32 v9, vcc, v9, v11
	v_mul_hi_u32 v8, v6, v7
	v_addc_co_u32_e32 v9, vcc, v12, v10, vcc
	v_addc_co_u32_e32 v8, vcc, 0, v8, vcc
	v_mul_lo_u32 v7, v6, v7
	v_add_co_u32_e32 v7, vcc, v9, v7
	v_addc_co_u32_e32 v8, vcc, 0, v8, vcc
	v_add_co_u32_e32 v3, vcc, v3, v7
	v_addc_co_u32_e32 v6, vcc, v6, v8, vcc
	v_ashrrev_i32_e32 v8, 31, v5
	v_add_co_u32_e32 v4, vcc, v4, v8
	v_addc_co_u32_e32 v5, vcc, v5, v8, vcc
	v_xor_b32_e32 v10, v4, v8
	v_xor_b32_e32 v9, v5, v8
	v_mad_u64_u32 v[4:5], s[2:3], v10, v6, 0
	v_mul_hi_u32 v7, v10, v3
	v_add_co_u32_e32 v11, vcc, v7, v4
	v_addc_co_u32_e32 v12, vcc, 0, v5, vcc
	v_mad_u64_u32 v[4:5], s[2:3], v9, v6, 0
	v_mad_u64_u32 v[6:7], s[2:3], v9, v3, 0
	v_add_co_u32_e32 v3, vcc, v11, v6
	v_addc_co_u32_e32 v3, vcc, v12, v7, vcc
	v_addc_co_u32_e32 v5, vcc, 0, v5, vcc
	v_add_co_u32_e32 v3, vcc, v3, v4
	v_addc_co_u32_e32 v4, vcc, 0, v5, vcc
	v_mul_lo_u32 v6, s31, v3
	v_mul_lo_u32 v7, s30, v4
	v_mad_u64_u32 v[4:5], s[2:3], s30, v3, 0
	v_add3_u32 v5, v5, v7, v6
	v_sub_u32_e32 v6, v9, v5
	v_mov_b32_e32 v7, s31
	v_sub_co_u32_e32 v4, vcc, v10, v4
	v_subb_co_u32_e64 v6, s[2:3], v6, v7, vcc
	v_subrev_co_u32_e64 v7, s[2:3], s30, v4
	v_subbrev_co_u32_e64 v6, s[2:3], 0, v6, s[2:3]
	v_cmp_le_u32_e64 s[2:3], s31, v6
	v_subb_co_u32_e32 v5, vcc, v9, v5, vcc
	v_cndmask_b32_e64 v10, 0, -1, s[2:3]
	v_cmp_le_u32_e64 s[2:3], s30, v7
	v_cmp_le_u32_e32 vcc, s31, v5
	v_cndmask_b32_e64 v7, 0, -1, s[2:3]
	v_cmp_eq_u32_e64 s[2:3], s31, v6
	v_cndmask_b32_e64 v9, 0, -1, vcc
	v_cmp_le_u32_e32 vcc, s30, v4
	v_cndmask_b32_e64 v6, v10, v7, s[2:3]
	v_cndmask_b32_e64 v4, 0, -1, vcc
	v_cmp_eq_u32_e32 vcc, s31, v5
	v_add_co_u32_e64 v7, s[2:3], 2, v3
	v_add_co_u32_e64 v10, s[2:3], 1, v3
	v_cndmask_b32_e32 v4, v9, v4, vcc
	v_cmp_ne_u32_e32 vcc, 0, v6
	v_cndmask_b32_e32 v5, v10, v7, vcc
	v_cmp_ne_u32_e32 vcc, 0, v4
	v_cndmask_b32_e32 v3, v3, v5, vcc
	v_xor_b32_e32 v4, s28, v8
	v_xor_b32_e32 v3, v3, v4
	v_sub_co_u32_e32 v6, vcc, v3, v4
                                        ; implicit-def: $vgpr4_vgpr5
.LBB35_14:                              ;   in Loop: Header=BB35_4 Depth=1
	s_andn2_saveexec_b64 s[2:3], s[26:27]
	s_cbranch_execz .LBB35_2
; %bb.15:                               ;   in Loop: Header=BB35_4 Depth=1
	v_cvt_f32_u32_e32 v3, s33
	s_sub_i32 s26, 0, s33
	v_rcp_iflag_f32_e32 v3, v3
	v_mul_f32_e32 v3, 0x4f7ffffe, v3
	v_cvt_u32_f32_e32 v3, v3
	v_mul_lo_u32 v5, s26, v3
	v_mul_hi_u32 v5, v3, v5
	v_add_u32_e32 v3, v3, v5
	v_mul_hi_u32 v3, v4, v3
	v_mul_lo_u32 v5, v3, s33
	v_sub_u32_e32 v4, v4, v5
	v_add_u32_e32 v6, 1, v3
	v_subrev_u32_e32 v5, s33, v4
	v_cmp_le_u32_e32 vcc, s33, v4
	v_cndmask_b32_e32 v4, v4, v5, vcc
	v_cndmask_b32_e32 v3, v3, v6, vcc
	v_add_u32_e32 v5, 1, v3
	v_cmp_le_u32_e32 vcc, s33, v4
	v_cndmask_b32_e32 v6, v3, v5, vcc
	s_branch .LBB35_2
.LBB35_16:
	s_endpgm
	.section	.rodata,"a",@progbits
	.p2align	6, 0x0
	.amdhsa_kernel _ZN2at4cuda17kernelHistogram1DIdilLi1ELi2ELin1ELNS0_23CUDAHistogramMemoryTypeE1EZNS0_21CUDA_tensor_histogramIdiLb1EEEbNS_6TensorES4_S4_lNS_14AccumulateTypeIT0_Lb1EE4typeES8_NS0_13TensorArgTypeES9_S9_EUllE0_EEvNS0_6detail10TensorInfoIT_T1_EESF_NSC_IKS6_SE_EElS8_S8_SE_T6_
		.amdhsa_group_segment_fixed_size 0
		.amdhsa_private_segment_fixed_size 0
		.amdhsa_kernarg_size 1544
		.amdhsa_user_sgpr_count 6
		.amdhsa_user_sgpr_private_segment_buffer 1
		.amdhsa_user_sgpr_dispatch_ptr 0
		.amdhsa_user_sgpr_queue_ptr 0
		.amdhsa_user_sgpr_kernarg_segment_ptr 1
		.amdhsa_user_sgpr_dispatch_id 0
		.amdhsa_user_sgpr_flat_scratch_init 0
		.amdhsa_user_sgpr_kernarg_preload_length 0
		.amdhsa_user_sgpr_kernarg_preload_offset 0
		.amdhsa_user_sgpr_private_segment_size 0
		.amdhsa_uses_dynamic_stack 0
		.amdhsa_system_sgpr_private_segment_wavefront_offset 0
		.amdhsa_system_sgpr_workgroup_id_x 1
		.amdhsa_system_sgpr_workgroup_id_y 0
		.amdhsa_system_sgpr_workgroup_id_z 0
		.amdhsa_system_sgpr_workgroup_info 0
		.amdhsa_system_vgpr_workitem_id 0
		.amdhsa_next_free_vgpr 18
		.amdhsa_next_free_sgpr 41
		.amdhsa_accum_offset 20
		.amdhsa_reserve_vcc 1
		.amdhsa_reserve_flat_scratch 0
		.amdhsa_float_round_mode_32 0
		.amdhsa_float_round_mode_16_64 0
		.amdhsa_float_denorm_mode_32 3
		.amdhsa_float_denorm_mode_16_64 3
		.amdhsa_dx10_clamp 1
		.amdhsa_ieee_mode 1
		.amdhsa_fp16_overflow 0
		.amdhsa_tg_split 0
		.amdhsa_exception_fp_ieee_invalid_op 0
		.amdhsa_exception_fp_denorm_src 0
		.amdhsa_exception_fp_ieee_div_zero 0
		.amdhsa_exception_fp_ieee_overflow 0
		.amdhsa_exception_fp_ieee_underflow 0
		.amdhsa_exception_fp_ieee_inexact 0
		.amdhsa_exception_int_div_zero 0
	.end_amdhsa_kernel
	.section	.text._ZN2at4cuda17kernelHistogram1DIdilLi1ELi2ELin1ELNS0_23CUDAHistogramMemoryTypeE1EZNS0_21CUDA_tensor_histogramIdiLb1EEEbNS_6TensorES4_S4_lNS_14AccumulateTypeIT0_Lb1EE4typeES8_NS0_13TensorArgTypeES9_S9_EUllE0_EEvNS0_6detail10TensorInfoIT_T1_EESF_NSC_IKS6_SE_EElS8_S8_SE_T6_,"axG",@progbits,_ZN2at4cuda17kernelHistogram1DIdilLi1ELi2ELin1ELNS0_23CUDAHistogramMemoryTypeE1EZNS0_21CUDA_tensor_histogramIdiLb1EEEbNS_6TensorES4_S4_lNS_14AccumulateTypeIT0_Lb1EE4typeES8_NS0_13TensorArgTypeES9_S9_EUllE0_EEvNS0_6detail10TensorInfoIT_T1_EESF_NSC_IKS6_SE_EElS8_S8_SE_T6_,comdat
.Lfunc_end35:
	.size	_ZN2at4cuda17kernelHistogram1DIdilLi1ELi2ELin1ELNS0_23CUDAHistogramMemoryTypeE1EZNS0_21CUDA_tensor_histogramIdiLb1EEEbNS_6TensorES4_S4_lNS_14AccumulateTypeIT0_Lb1EE4typeES8_NS0_13TensorArgTypeES9_S9_EUllE0_EEvNS0_6detail10TensorInfoIT_T1_EESF_NSC_IKS6_SE_EElS8_S8_SE_T6_, .Lfunc_end35-_ZN2at4cuda17kernelHistogram1DIdilLi1ELi2ELin1ELNS0_23CUDAHistogramMemoryTypeE1EZNS0_21CUDA_tensor_histogramIdiLb1EEEbNS_6TensorES4_S4_lNS_14AccumulateTypeIT0_Lb1EE4typeES8_NS0_13TensorArgTypeES9_S9_EUllE0_EEvNS0_6detail10TensorInfoIT_T1_EESF_NSC_IKS6_SE_EElS8_S8_SE_T6_
                                        ; -- End function
	.section	.AMDGPU.csdata,"",@progbits
; Kernel info:
; codeLenInByte = 2224
; NumSgprs: 45
; NumVgprs: 18
; NumAgprs: 0
; TotalNumVgprs: 18
; ScratchSize: 0
; MemoryBound: 0
; FloatMode: 240
; IeeeMode: 1
; LDSByteSize: 0 bytes/workgroup (compile time only)
; SGPRBlocks: 5
; VGPRBlocks: 2
; NumSGPRsForWavesPerEU: 45
; NumVGPRsForWavesPerEU: 18
; AccumOffset: 20
; Occupancy: 8
; WaveLimiterHint : 1
; COMPUTE_PGM_RSRC2:SCRATCH_EN: 0
; COMPUTE_PGM_RSRC2:USER_SGPR: 6
; COMPUTE_PGM_RSRC2:TRAP_HANDLER: 0
; COMPUTE_PGM_RSRC2:TGID_X_EN: 1
; COMPUTE_PGM_RSRC2:TGID_Y_EN: 0
; COMPUTE_PGM_RSRC2:TGID_Z_EN: 0
; COMPUTE_PGM_RSRC2:TIDIG_COMP_CNT: 0
; COMPUTE_PGM_RSRC3_GFX90A:ACCUM_OFFSET: 4
; COMPUTE_PGM_RSRC3_GFX90A:TG_SPLIT: 0
	.section	.text._ZN2at4cuda17kernelHistogram1DIfllLi1ELi2ELin1ELNS0_23CUDAHistogramMemoryTypeE0EZNS0_21CUDA_tensor_histogramIflLb1EEEbNS_6TensorES4_S4_lNS_14AccumulateTypeIT0_Lb1EE4typeES8_NS0_13TensorArgTypeES9_S9_EUllE_EEvNS0_6detail10TensorInfoIT_T1_EESF_NSC_IKS6_SE_EElS8_S8_SE_T6_,"axG",@progbits,_ZN2at4cuda17kernelHistogram1DIfllLi1ELi2ELin1ELNS0_23CUDAHistogramMemoryTypeE0EZNS0_21CUDA_tensor_histogramIflLb1EEEbNS_6TensorES4_S4_lNS_14AccumulateTypeIT0_Lb1EE4typeES8_NS0_13TensorArgTypeES9_S9_EUllE_EEvNS0_6detail10TensorInfoIT_T1_EESF_NSC_IKS6_SE_EElS8_S8_SE_T6_,comdat
	.protected	_ZN2at4cuda17kernelHistogram1DIfllLi1ELi2ELin1ELNS0_23CUDAHistogramMemoryTypeE0EZNS0_21CUDA_tensor_histogramIflLb1EEEbNS_6TensorES4_S4_lNS_14AccumulateTypeIT0_Lb1EE4typeES8_NS0_13TensorArgTypeES9_S9_EUllE_EEvNS0_6detail10TensorInfoIT_T1_EESF_NSC_IKS6_SE_EElS8_S8_SE_T6_ ; -- Begin function _ZN2at4cuda17kernelHistogram1DIfllLi1ELi2ELin1ELNS0_23CUDAHistogramMemoryTypeE0EZNS0_21CUDA_tensor_histogramIflLb1EEEbNS_6TensorES4_S4_lNS_14AccumulateTypeIT0_Lb1EE4typeES8_NS0_13TensorArgTypeES9_S9_EUllE_EEvNS0_6detail10TensorInfoIT_T1_EESF_NSC_IKS6_SE_EElS8_S8_SE_T6_
	.globl	_ZN2at4cuda17kernelHistogram1DIfllLi1ELi2ELin1ELNS0_23CUDAHistogramMemoryTypeE0EZNS0_21CUDA_tensor_histogramIflLb1EEEbNS_6TensorES4_S4_lNS_14AccumulateTypeIT0_Lb1EE4typeES8_NS0_13TensorArgTypeES9_S9_EUllE_EEvNS0_6detail10TensorInfoIT_T1_EESF_NSC_IKS6_SE_EElS8_S8_SE_T6_
	.p2align	8
	.type	_ZN2at4cuda17kernelHistogram1DIfllLi1ELi2ELin1ELNS0_23CUDAHistogramMemoryTypeE0EZNS0_21CUDA_tensor_histogramIflLb1EEEbNS_6TensorES4_S4_lNS_14AccumulateTypeIT0_Lb1EE4typeES8_NS0_13TensorArgTypeES9_S9_EUllE_EEvNS0_6detail10TensorInfoIT_T1_EESF_NSC_IKS6_SE_EElS8_S8_SE_T6_,@function
_ZN2at4cuda17kernelHistogram1DIfllLi1ELi2ELin1ELNS0_23CUDAHistogramMemoryTypeE0EZNS0_21CUDA_tensor_histogramIflLb1EEEbNS_6TensorES4_S4_lNS_14AccumulateTypeIT0_Lb1EE4typeES8_NS0_13TensorArgTypeES9_S9_EUllE_EEvNS0_6detail10TensorInfoIT_T1_EESF_NSC_IKS6_SE_EElS8_S8_SE_T6_: ; @_ZN2at4cuda17kernelHistogram1DIfllLi1ELi2ELin1ELNS0_23CUDAHistogramMemoryTypeE0EZNS0_21CUDA_tensor_histogramIflLb1EEEbNS_6TensorES4_S4_lNS_14AccumulateTypeIT0_Lb1EE4typeES8_NS0_13TensorArgTypeES9_S9_EUllE_EEvNS0_6detail10TensorInfoIT_T1_EESF_NSC_IKS6_SE_EElS8_S8_SE_T6_
; %bb.0:
	s_load_dwordx4 s[16:19], s[4:5], 0x0
	s_load_dwordx2 s[22:23], s[4:5], 0x500
	s_load_dwordx8 s[8:15], s[4:5], 0x4e0
	v_mov_b32_e32 v1, 0
	s_add_u32 s26, s4, 0x6a0
	s_waitcnt lgkmcnt(0)
	v_cmp_gt_i64_e64 s[0:1], s[18:19], v[0:1]
	v_cmp_le_i64_e32 vcc, s[18:19], v[0:1]
	s_addc_u32 s27, s5, 0
                                        ; implicit-def: $sgpr7
	s_and_saveexec_b64 s[2:3], vcc
	s_xor_b64 s[2:3], exec, s[2:3]
	s_cbranch_execz .LBB36_2
; %bb.1:
	s_load_dword s7, s[26:27], 0xc
.LBB36_2:
	s_or_saveexec_b64 s[28:29], s[2:3]
	s_load_dwordx2 s[20:21], s[4:5], 0xd0
	s_load_dwordx2 s[24:25], s[4:5], 0x5d0
	s_waitcnt lgkmcnt(0)
	v_mov_b32_e32 v4, s7
	s_xor_b64 exec, exec, s[28:29]
	s_cbranch_execz .LBB36_16
; %bb.3:
	s_load_dword s7, s[26:27], 0xc
	v_mov_b32_e32 v2, s19
	s_mov_b32 s34, 0
	s_waitcnt lgkmcnt(0)
	s_and_b32 s33, s7, 0xffff
	v_add_co_u32_e32 v4, vcc, s33, v0
	v_addc_co_u32_e64 v5, s[2:3], 0, 0, vcc
	v_cmp_gt_i64_e32 vcc, s[18:19], v[4:5]
	v_cndmask_b32_e32 v6, v5, v2, vcc
	v_mov_b32_e32 v2, s18
	v_cndmask_b32_e32 v3, v4, v2, vcc
	v_cndmask_b32_e64 v2, 0, 1, vcc
	v_add_co_u32_e32 v4, vcc, v4, v2
	v_addc_co_u32_e32 v5, vcc, 0, v5, vcc
	v_sub_co_u32_e32 v3, vcc, v3, v4
	v_subb_co_u32_e32 v5, vcc, v6, v5, vcc
	v_mov_b32_e32 v4, 0
	v_cmp_ne_u64_e32 vcc, 0, v[4:5]
                                        ; implicit-def: $vgpr6_vgpr7
	s_and_saveexec_b64 s[2:3], vcc
	s_xor_b64 s[30:31], exec, s[2:3]
	s_cbranch_execz .LBB36_5
; %bb.4:
	v_cvt_f32_u32_e32 v4, s33
	v_mov_b32_e32 v6, 0x4f800000
	s_sub_u32 s2, 0, s33
	s_subb_u32 s3, 0, 0
	v_mac_f32_e32 v4, 0, v6
	v_rcp_f32_e32 v4, v4
	v_mul_f32_e32 v4, 0x5f7ffffc, v4
	v_mul_f32_e32 v6, 0x2f800000, v4
	v_trunc_f32_e32 v6, v6
	v_madmk_f32 v4, v6, 0xcf800000, v4
	v_cvt_u32_f32_e32 v6, v6
	v_cvt_u32_f32_e32 v4, v4
	v_mul_lo_u32 v7, s2, v6
	v_mul_hi_u32 v9, s2, v4
	v_mul_lo_u32 v8, s3, v4
	v_add_u32_e32 v7, v9, v7
	v_mul_lo_u32 v10, s2, v4
	v_add_u32_e32 v7, v7, v8
	v_mul_hi_u32 v9, v4, v10
	v_mul_lo_u32 v11, v4, v7
	v_mul_hi_u32 v8, v4, v7
	v_add_co_u32_e32 v9, vcc, v9, v11
	v_addc_co_u32_e32 v8, vcc, 0, v8, vcc
	v_mul_hi_u32 v12, v6, v10
	v_mul_lo_u32 v10, v6, v10
	v_add_co_u32_e32 v9, vcc, v9, v10
	v_mul_hi_u32 v11, v6, v7
	v_addc_co_u32_e32 v8, vcc, v8, v12, vcc
	v_addc_co_u32_e32 v9, vcc, 0, v11, vcc
	v_mul_lo_u32 v7, v6, v7
	v_add_co_u32_e32 v7, vcc, v8, v7
	v_addc_co_u32_e32 v8, vcc, 0, v9, vcc
	v_add_co_u32_e32 v4, vcc, v4, v7
	v_addc_co_u32_e32 v6, vcc, v6, v8, vcc
	v_mul_lo_u32 v7, s2, v6
	v_mul_hi_u32 v8, s2, v4
	v_add_u32_e32 v7, v8, v7
	v_mul_lo_u32 v8, s3, v4
	v_add_u32_e32 v7, v7, v8
	v_mul_lo_u32 v9, s2, v4
	v_mul_hi_u32 v10, v6, v9
	v_mul_lo_u32 v11, v6, v9
	v_mul_lo_u32 v13, v4, v7
	v_mul_hi_u32 v9, v4, v9
	v_mul_hi_u32 v12, v4, v7
	v_add_co_u32_e32 v9, vcc, v9, v13
	v_addc_co_u32_e32 v12, vcc, 0, v12, vcc
	v_add_co_u32_e32 v9, vcc, v9, v11
	v_mul_hi_u32 v8, v6, v7
	v_addc_co_u32_e32 v9, vcc, v12, v10, vcc
	v_addc_co_u32_e32 v8, vcc, 0, v8, vcc
	v_mul_lo_u32 v7, v6, v7
	v_add_co_u32_e32 v7, vcc, v9, v7
	v_addc_co_u32_e32 v8, vcc, 0, v8, vcc
	v_add_co_u32_e32 v4, vcc, v4, v7
	v_addc_co_u32_e32 v8, vcc, v6, v8, vcc
	v_mad_u64_u32 v[6:7], s[2:3], v3, v8, 0
	v_mul_hi_u32 v9, v3, v4
	v_add_co_u32_e32 v10, vcc, v9, v6
	v_addc_co_u32_e32 v11, vcc, 0, v7, vcc
	v_mad_u64_u32 v[6:7], s[2:3], v5, v8, 0
	v_mad_u64_u32 v[8:9], s[2:3], v5, v4, 0
	v_add_co_u32_e32 v4, vcc, v10, v8
	v_addc_co_u32_e32 v4, vcc, v11, v9, vcc
	v_addc_co_u32_e32 v7, vcc, 0, v7, vcc
	v_add_co_u32_e32 v10, vcc, v4, v6
	v_addc_co_u32_e32 v11, vcc, 0, v7, vcc
	v_mad_u64_u32 v[6:7], s[2:3], s33, v10, 0
	v_mov_b32_e32 v4, v7
	v_mad_u64_u32 v[8:9], s[2:3], s33, v11, v[4:5]
	v_sub_co_u32_e32 v3, vcc, v3, v6
	v_subb_co_u32_e32 v4, vcc, v5, v8, vcc
	v_subrev_co_u32_e32 v5, vcc, s33, v3
	v_subbrev_co_u32_e32 v6, vcc, 0, v4, vcc
	v_cmp_le_u32_e32 vcc, s33, v5
	v_cndmask_b32_e64 v5, 0, -1, vcc
	v_cmp_eq_u32_e32 vcc, 0, v6
	v_cndmask_b32_e32 v5, -1, v5, vcc
	v_add_co_u32_e32 v6, vcc, 2, v10
	v_addc_co_u32_e32 v7, vcc, 0, v11, vcc
	v_add_co_u32_e32 v8, vcc, 1, v10
	v_cmp_le_u32_e64 s[2:3], s33, v3
	v_addc_co_u32_e32 v9, vcc, 0, v11, vcc
	v_cndmask_b32_e64 v3, 0, -1, s[2:3]
	v_cmp_eq_u32_e64 s[2:3], 0, v4
	v_cmp_ne_u32_e32 vcc, 0, v5
	v_cndmask_b32_e64 v3, -1, v3, s[2:3]
	v_cndmask_b32_e32 v5, v9, v7, vcc
	v_cmp_ne_u32_e64 s[2:3], 0, v3
	v_cndmask_b32_e32 v3, v8, v6, vcc
	v_cndmask_b32_e64 v7, v11, v5, s[2:3]
	v_cndmask_b32_e64 v6, v10, v3, s[2:3]
                                        ; implicit-def: $vgpr3
.LBB36_5:
	s_andn2_saveexec_b64 s[2:3], s[30:31]
	s_cbranch_execz .LBB36_7
; %bb.6:
	v_cvt_f32_u32_e32 v4, s33
	s_sub_i32 s30, 0, s33
	v_mov_b32_e32 v7, 0
	v_rcp_iflag_f32_e32 v4, v4
	v_mul_f32_e32 v4, 0x4f7ffffe, v4
	v_cvt_u32_f32_e32 v4, v4
	v_mul_lo_u32 v5, s30, v4
	v_mul_hi_u32 v5, v4, v5
	v_add_u32_e32 v4, v4, v5
	v_mul_hi_u32 v4, v3, v4
	v_mul_lo_u32 v5, v4, s33
	v_sub_u32_e32 v3, v3, v5
	v_add_u32_e32 v6, 1, v4
	v_subrev_u32_e32 v5, s33, v3
	v_cmp_le_u32_e32 vcc, s33, v3
	v_cndmask_b32_e32 v3, v3, v5, vcc
	v_cndmask_b32_e32 v4, v4, v6, vcc
	v_add_u32_e32 v5, 1, v4
	v_cmp_le_u32_e32 vcc, s33, v3
	v_cndmask_b32_e32 v6, v4, v5, vcc
.LBB36_7:
	s_or_b64 exec, exec, s[2:3]
	v_add_co_u32_e32 v2, vcc, v6, v2
	v_addc_co_u32_e32 v3, vcc, 0, v7, vcc
	v_add_co_u32_e32 v4, vcc, 1, v2
	v_addc_co_u32_e32 v5, vcc, 0, v3, vcc
	v_cmp_lt_u64_e32 vcc, 1, v[4:5]
	v_cmp_eq_u16_e64 s[2:3], s7, 1
	s_and_b64 s[36:37], vcc, s[2:3]
	s_mov_b64 s[30:31], -1
	v_pk_mov_b32 v[2:3], v[0:1], v[0:1] op_sel:[0,1]
                                        ; implicit-def: $sgpr35
	s_and_saveexec_b64 s[2:3], s[36:37]
	s_cbranch_execz .LBB36_11
; %bb.8:
	v_and_b32_e32 v6, -2, v4
	v_mov_b32_e32 v7, v5
	v_lshl_add_u32 v8, v0, 2, 0
	s_mov_b64 s[30:31], 0
	v_mov_b32_e32 v9, 0
	v_pk_mov_b32 v[2:3], v[6:7], v[6:7] op_sel:[0,1]
.LBB36_9:                               ; =>This Inner Loop Header: Depth=1
	v_add_co_u32_e32 v2, vcc, -2, v2
	v_addc_co_u32_e32 v3, vcc, -1, v3, vcc
	v_cmp_eq_u64_e32 vcc, 0, v[2:3]
	ds_write2_b32 v8, v9, v9 offset1:1
	s_or_b64 s[30:31], vcc, s[30:31]
	v_add_u32_e32 v8, 8, v8
	s_andn2_b64 exec, exec, s[30:31]
	s_cbranch_execnz .LBB36_9
; %bb.10:
	s_or_b64 exec, exec, s[30:31]
	v_mad_u64_u32 v[2:3], s[30:31], v6, s33, v[0:1]
	v_mov_b32_e32 v8, v3
	v_mad_u64_u32 v[8:9], s[30:31], v7, s33, v[8:9]
	v_cmp_ne_u64_e32 vcc, v[4:5], v[6:7]
	v_mov_b32_e32 v3, v8
	s_mov_b32 s35, 1
	s_orn2_b64 s[30:31], vcc, exec
.LBB36_11:
	s_or_b64 exec, exec, s[2:3]
	v_mov_b32_e32 v4, s35
	s_and_saveexec_b64 s[2:3], s[30:31]
	s_cbranch_execz .LBB36_15
; %bb.12:
	v_lshl_add_u32 v4, v2, 2, 0
	s_lshl_b32 s35, s33, 2
	s_mov_b64 s[30:31], 0
	v_mov_b32_e32 v5, 0
	v_mov_b32_e32 v6, s34
.LBB36_13:                              ; =>This Inner Loop Header: Depth=1
	v_add_co_u32_e32 v2, vcc, s33, v2
	v_addc_co_u32_e32 v3, vcc, v3, v6, vcc
	v_cmp_le_i64_e32 vcc, s[18:19], v[2:3]
	ds_write_b32 v4, v5
	s_or_b64 s[30:31], vcc, s[30:31]
	v_add_u32_e32 v4, s35, v4
	s_andn2_b64 exec, exec, s[30:31]
	s_cbranch_execnz .LBB36_13
; %bb.14:
	s_or_b64 exec, exec, s[30:31]
	v_mov_b32_e32 v4, s7
.LBB36_15:
	s_or_b64 exec, exec, s[2:3]
.LBB36_16:
	s_or_b64 exec, exec, s[28:29]
	v_and_b32_e32 v2, 0xffff, v4
	v_mad_u64_u32 v[4:5], s[2:3], s6, v2, v[0:1]
	v_mov_b32_e32 v6, 0
	v_mov_b32_e32 v5, v6
	v_cmp_gt_i64_e32 vcc, s[14:15], v[4:5]
	s_waitcnt lgkmcnt(0)
	s_barrier
	s_waitcnt lgkmcnt(0)
                                        ; kill: def $vgpr3 killed $sgpr0 killed $exec
	s_and_saveexec_b64 s[6:7], vcc
	s_cbranch_execz .LBB36_32
; %bb.17:
	s_load_dword s30, s[4:5], 0x4d8
	s_add_u32 s31, s4, 0x340
	s_addc_u32 s35, s5, 0
	s_load_dword s34, s[26:27], 0x0
	s_load_dwordx2 s[28:29], s[4:5], 0x340
	s_waitcnt lgkmcnt(0)
	v_mul_lo_u32 v8, s34, v2
	s_load_dwordx2 s[26:27], s[4:5], 0x410
	s_cmp_gt_i32 s30, 1
	s_cselect_b64 s[2:3], -1, 0
	s_sub_u32 s33, s12, s10
	s_subb_u32 s46, s13, s11
	s_mov_b32 s5, 0
	s_add_i32 s4, s30, -1
	s_add_i32 s47, s30, 1
	s_lshl_b64 s[4:5], s[4:5], 3
	s_add_u32 s4, s4, s31
	s_addc_u32 s5, s5, s35
	s_add_u32 s30, s4, 8
	v_cndmask_b32_e64 v3, 0, 1, s[2:3]
	s_addc_u32 s31, s5, 0
	s_mov_b64 s[34:35], 0
	v_cmp_ne_u32_e64 s[2:3], 1, v3
	s_branch .LBB36_20
.LBB36_18:                              ;   in Loop: Header=BB36_20 Depth=1
	s_or_b64 exec, exec, s[4:5]
	v_mul_lo_u32 v3, v5, s24
	v_mul_lo_u32 v7, v4, s25
	v_mad_u64_u32 v[10:11], s[4:5], v4, s24, 0
	v_add3_u32 v11, v11, v7, v3
	v_lshlrev_b64 v[10:11], 2, v[10:11]
	v_mov_b32_e32 v3, s23
	v_add_co_u32_e32 v10, vcc, s22, v10
	v_addc_co_u32_e32 v11, vcc, v3, v11, vcc
	global_load_dword v3, v[10:11], off
	v_ashrrev_i32_e32 v13, 31, v12
	v_cmp_eq_u64_e32 vcc, s[8:9], v[12:13]
	v_subbrev_co_u32_e32 v7, vcc, 0, v12, vcc
	v_lshl_add_u32 v7, v7, 2, 0
	s_waitcnt vmcnt(0)
	ds_add_f32 v7, v3
	s_waitcnt lgkmcnt(0)
.LBB36_19:                              ;   in Loop: Header=BB36_20 Depth=1
	s_or_b64 exec, exec, s[36:37]
	v_add_co_u32_e32 v4, vcc, v4, v8
	v_addc_co_u32_e32 v5, vcc, 0, v5, vcc
	v_cmp_le_i64_e32 vcc, s[14:15], v[4:5]
	s_or_b64 s[34:35], vcc, s[34:35]
	s_andn2_b64 exec, exec, s[34:35]
	s_cbranch_execz .LBB36_32
.LBB36_20:                              ; =>This Loop Header: Depth=1
                                        ;     Child Loop BB36_21 Depth 2
	s_and_b64 vcc, exec, s[2:3]
	v_pk_mov_b32 v[10:11], 0, 0
	s_mov_b64 s[36:37], s[30:31]
	s_mov_b32 s48, s47
	v_pk_mov_b32 v[12:13], v[4:5], v[4:5] op_sel:[0,1]
	v_pk_mov_b32 v[14:15], v[4:5], v[4:5] op_sel:[0,1]
	s_cbranch_vccnz .LBB36_27
.LBB36_21:                              ;   Parent Loop BB36_20 Depth=1
                                        ; =>  This Inner Loop Header: Depth=2
	s_load_dwordx2 s[38:39], s[36:37], 0x0
                                        ; implicit-def: $vgpr14_vgpr15
	s_waitcnt lgkmcnt(0)
	v_or_b32_e32 v7, s39, v13
	v_cmp_ne_u64_e32 vcc, 0, v[6:7]
	s_and_saveexec_b64 s[4:5], vcc
	s_xor_b64 s[40:41], exec, s[4:5]
	s_cbranch_execz .LBB36_23
; %bb.22:                               ;   in Loop: Header=BB36_21 Depth=2
	s_ashr_i32 s42, s39, 31
	s_add_u32 s4, s38, s42
	s_mov_b32 s43, s42
	s_addc_u32 s5, s39, s42
	s_xor_b64 s[44:45], s[4:5], s[42:43]
	v_cvt_f32_u32_e32 v3, s44
	v_cvt_f32_u32_e32 v7, s45
	s_sub_u32 s4, 0, s44
	s_subb_u32 s5, 0, s45
	v_mac_f32_e32 v3, 0x4f800000, v7
	v_rcp_f32_e32 v3, v3
	v_mul_f32_e32 v3, 0x5f7ffffc, v3
	v_mul_f32_e32 v7, 0x2f800000, v3
	v_trunc_f32_e32 v7, v7
	v_mac_f32_e32 v3, 0xcf800000, v7
	v_cvt_u32_f32_e32 v7, v7
	v_cvt_u32_f32_e32 v3, v3
	v_mul_lo_u32 v9, s4, v7
	v_mul_hi_u32 v15, s4, v3
	v_mul_lo_u32 v14, s5, v3
	v_add_u32_e32 v9, v15, v9
	v_mul_lo_u32 v16, s4, v3
	v_add_u32_e32 v9, v9, v14
	v_mul_lo_u32 v15, v3, v9
	v_mul_hi_u32 v17, v3, v16
	v_mul_hi_u32 v14, v3, v9
	v_add_co_u32_e32 v15, vcc, v17, v15
	v_addc_co_u32_e32 v14, vcc, 0, v14, vcc
	v_mul_hi_u32 v18, v7, v16
	v_mul_lo_u32 v16, v7, v16
	v_add_co_u32_e32 v15, vcc, v15, v16
	v_mul_hi_u32 v17, v7, v9
	v_addc_co_u32_e32 v14, vcc, v14, v18, vcc
	v_addc_co_u32_e32 v15, vcc, 0, v17, vcc
	v_mul_lo_u32 v9, v7, v9
	v_add_co_u32_e32 v9, vcc, v14, v9
	v_addc_co_u32_e32 v14, vcc, 0, v15, vcc
	v_add_co_u32_e32 v3, vcc, v3, v9
	v_addc_co_u32_e32 v7, vcc, v7, v14, vcc
	v_mul_lo_u32 v9, s4, v7
	v_mul_hi_u32 v14, s4, v3
	v_add_u32_e32 v9, v14, v9
	v_mul_lo_u32 v14, s5, v3
	v_add_u32_e32 v9, v9, v14
	v_mul_lo_u32 v15, s4, v3
	v_mul_hi_u32 v16, v7, v15
	v_mul_lo_u32 v17, v7, v15
	v_mul_lo_u32 v19, v3, v9
	v_mul_hi_u32 v15, v3, v15
	v_mul_hi_u32 v18, v3, v9
	v_add_co_u32_e32 v15, vcc, v15, v19
	v_addc_co_u32_e32 v18, vcc, 0, v18, vcc
	v_add_co_u32_e32 v15, vcc, v15, v17
	v_mul_hi_u32 v14, v7, v9
	v_addc_co_u32_e32 v15, vcc, v18, v16, vcc
	v_addc_co_u32_e32 v14, vcc, 0, v14, vcc
	v_mul_lo_u32 v9, v7, v9
	v_add_co_u32_e32 v9, vcc, v15, v9
	v_addc_co_u32_e32 v14, vcc, 0, v14, vcc
	v_add_co_u32_e32 v3, vcc, v3, v9
	v_addc_co_u32_e32 v7, vcc, v7, v14, vcc
	v_ashrrev_i32_e32 v9, 31, v13
	v_add_co_u32_e32 v14, vcc, v12, v9
	v_addc_co_u32_e32 v15, vcc, v13, v9, vcc
	v_xor_b32_e32 v19, v14, v9
	v_xor_b32_e32 v18, v15, v9
	v_mad_u64_u32 v[14:15], s[4:5], v19, v7, 0
	v_mul_hi_u32 v16, v19, v3
	v_add_co_u32_e32 v20, vcc, v16, v14
	v_addc_co_u32_e32 v21, vcc, 0, v15, vcc
	v_mad_u64_u32 v[16:17], s[4:5], v18, v3, 0
	v_add_co_u32_e32 v3, vcc, v20, v16
	v_mad_u64_u32 v[14:15], s[4:5], v18, v7, 0
	v_addc_co_u32_e32 v3, vcc, v21, v17, vcc
	v_addc_co_u32_e32 v7, vcc, 0, v15, vcc
	v_add_co_u32_e32 v3, vcc, v3, v14
	v_addc_co_u32_e32 v7, vcc, 0, v7, vcc
	v_mul_lo_u32 v16, s45, v3
	v_mul_lo_u32 v17, s44, v7
	v_mad_u64_u32 v[14:15], s[4:5], s44, v3, 0
	v_add3_u32 v15, v15, v17, v16
	v_sub_u32_e32 v16, v18, v15
	v_mov_b32_e32 v17, s45
	v_sub_co_u32_e32 v14, vcc, v19, v14
	v_subb_co_u32_e64 v16, s[4:5], v16, v17, vcc
	v_subrev_co_u32_e64 v17, s[4:5], s44, v14
	v_subbrev_co_u32_e64 v16, s[4:5], 0, v16, s[4:5]
	v_cmp_le_u32_e64 s[4:5], s45, v16
	v_cndmask_b32_e64 v19, 0, -1, s[4:5]
	v_cmp_le_u32_e64 s[4:5], s44, v17
	v_cndmask_b32_e64 v17, 0, -1, s[4:5]
	v_cmp_eq_u32_e64 s[4:5], s45, v16
	v_cndmask_b32_e64 v16, v19, v17, s[4:5]
	v_add_co_u32_e64 v17, s[4:5], 2, v3
	v_subb_co_u32_e32 v15, vcc, v18, v15, vcc
	v_addc_co_u32_e64 v19, s[4:5], 0, v7, s[4:5]
	v_cmp_le_u32_e32 vcc, s45, v15
	v_add_co_u32_e64 v20, s[4:5], 1, v3
	v_cndmask_b32_e64 v18, 0, -1, vcc
	v_cmp_le_u32_e32 vcc, s44, v14
	v_addc_co_u32_e64 v21, s[4:5], 0, v7, s[4:5]
	v_cndmask_b32_e64 v14, 0, -1, vcc
	v_cmp_eq_u32_e32 vcc, s45, v15
	v_cmp_ne_u32_e64 s[4:5], 0, v16
	v_cndmask_b32_e32 v14, v18, v14, vcc
	v_cmp_ne_u32_e32 vcc, 0, v14
	v_cndmask_b32_e64 v14, v20, v17, s[4:5]
	v_cndmask_b32_e64 v16, v21, v19, s[4:5]
	v_cndmask_b32_e32 v3, v3, v14, vcc
	v_xor_b32_e32 v9, s42, v9
	v_cndmask_b32_e32 v7, v7, v16, vcc
	v_xor_b32_e32 v3, v3, v9
	v_xor_b32_e32 v7, v7, v9
	v_sub_co_u32_e32 v14, vcc, v3, v9
	v_subb_co_u32_e32 v15, vcc, v7, v9, vcc
.LBB36_23:                              ;   in Loop: Header=BB36_21 Depth=2
	s_andn2_saveexec_b64 s[4:5], s[40:41]
	s_cbranch_execz .LBB36_25
; %bb.24:                               ;   in Loop: Header=BB36_21 Depth=2
	v_cvt_f32_u32_e32 v3, s38
	s_sub_i32 s40, 0, s38
	v_mov_b32_e32 v15, v6
	v_rcp_iflag_f32_e32 v3, v3
	v_mul_f32_e32 v3, 0x4f7ffffe, v3
	v_cvt_u32_f32_e32 v3, v3
	v_mul_lo_u32 v7, s40, v3
	v_mul_hi_u32 v7, v3, v7
	v_add_u32_e32 v3, v3, v7
	v_mul_hi_u32 v3, v12, v3
	v_mul_lo_u32 v7, v3, s38
	v_sub_u32_e32 v7, v12, v7
	v_add_u32_e32 v9, 1, v3
	v_subrev_u32_e32 v14, s38, v7
	v_cmp_le_u32_e32 vcc, s38, v7
	v_cndmask_b32_e32 v7, v7, v14, vcc
	v_cndmask_b32_e32 v3, v3, v9, vcc
	v_add_u32_e32 v9, 1, v3
	v_cmp_le_u32_e32 vcc, s38, v7
	v_cndmask_b32_e32 v14, v3, v9, vcc
.LBB36_25:                              ;   in Loop: Header=BB36_21 Depth=2
	s_or_b64 exec, exec, s[4:5]
	v_mad_u64_u32 v[16:17], s[4:5], v14, s38, 0
	s_load_dwordx2 s[4:5], s[36:37], 0xc8
	v_mul_lo_u32 v3, v15, s38
	v_mul_lo_u32 v7, v14, s39
	v_add3_u32 v3, v17, v7, v3
	v_sub_co_u32_e32 v7, vcc, v12, v16
	s_add_i32 s48, s48, -1
	v_subb_co_u32_e32 v3, vcc, v13, v3, vcc
	s_add_u32 s36, s36, -8
	s_waitcnt lgkmcnt(0)
	v_mul_lo_u32 v3, s4, v3
	v_mul_lo_u32 v9, s5, v7
	v_mad_u64_u32 v[10:11], s[4:5], s4, v7, v[10:11]
	s_addc_u32 s37, s37, -1
	s_cmp_gt_u32 s48, 2
	v_add3_u32 v11, v9, v11, v3
	s_cbranch_scc0 .LBB36_27
; %bb.26:                               ;   in Loop: Header=BB36_21 Depth=2
	v_pk_mov_b32 v[12:13], v[14:15], v[14:15] op_sel:[0,1]
	s_branch .LBB36_21
.LBB36_27:                              ;   in Loop: Header=BB36_20 Depth=1
	s_waitcnt lgkmcnt(0)
	v_mul_lo_u32 v3, s27, v14
	v_mul_lo_u32 v7, s26, v15
	v_mad_u64_u32 v[12:13], s[4:5], s26, v14, 0
	v_add3_u32 v13, v13, v7, v3
	v_lshlrev_b64 v[12:13], 3, v[12:13]
	v_mov_b32_e32 v3, s29
	v_add_co_u32_e32 v7, vcc, s28, v12
	v_addc_co_u32_e32 v3, vcc, v3, v13, vcc
	v_lshlrev_b64 v[10:11], 3, v[10:11]
	v_add_co_u32_e32 v10, vcc, v7, v10
	v_addc_co_u32_e32 v11, vcc, v3, v11, vcc
	global_load_dwordx2 v[10:11], v[10:11], off
	s_waitcnt vmcnt(0)
	v_cmp_le_i64_e32 vcc, s[10:11], v[10:11]
	v_cmp_ge_i64_e64 s[4:5], s[12:13], v[10:11]
	s_and_b64 s[4:5], vcc, s[4:5]
	s_and_saveexec_b64 s[36:37], s[4:5]
	s_cbranch_execz .LBB36_19
; %bb.28:                               ;   in Loop: Header=BB36_20 Depth=1
	v_mov_b32_e32 v3, s11
	v_subrev_co_u32_e32 v7, vcc, s10, v10
	v_subb_co_u32_e32 v3, vcc, v11, v3, vcc
	v_mul_lo_u32 v3, v3, s8
	v_mul_lo_u32 v9, v7, s9
	v_mad_u64_u32 v[10:11], s[4:5], v7, s8, 0
	v_add3_u32 v11, v11, v9, v3
	v_or_b32_e32 v7, s46, v11
	v_cmp_ne_u64_e32 vcc, 0, v[6:7]
                                        ; implicit-def: $vgpr12_vgpr13
	s_and_saveexec_b64 s[4:5], vcc
	s_xor_b64 s[38:39], exec, s[4:5]
	s_cbranch_execz .LBB36_30
; %bb.29:                               ;   in Loop: Header=BB36_20 Depth=1
	s_ashr_i32 s40, s46, 31
	s_add_u32 s4, s33, s40
	s_mov_b32 s41, s40
	s_addc_u32 s5, s46, s40
	s_xor_b64 s[42:43], s[4:5], s[40:41]
	v_cvt_f32_u32_e32 v3, s42
	v_cvt_f32_u32_e32 v7, s43
	s_sub_u32 s4, 0, s42
	s_subb_u32 s5, 0, s43
	v_mac_f32_e32 v3, 0x4f800000, v7
	v_rcp_f32_e32 v3, v3
	v_mul_f32_e32 v3, 0x5f7ffffc, v3
	v_mul_f32_e32 v7, 0x2f800000, v3
	v_trunc_f32_e32 v7, v7
	v_mac_f32_e32 v3, 0xcf800000, v7
	v_cvt_u32_f32_e32 v7, v7
	v_cvt_u32_f32_e32 v3, v3
	v_mul_lo_u32 v9, s4, v7
	v_mul_hi_u32 v13, s4, v3
	v_mul_lo_u32 v12, s5, v3
	v_add_u32_e32 v9, v13, v9
	v_mul_lo_u32 v14, s4, v3
	v_add_u32_e32 v9, v9, v12
	v_mul_lo_u32 v13, v3, v9
	v_mul_hi_u32 v15, v3, v14
	v_mul_hi_u32 v12, v3, v9
	v_add_co_u32_e32 v13, vcc, v15, v13
	v_addc_co_u32_e32 v12, vcc, 0, v12, vcc
	v_mul_hi_u32 v16, v7, v14
	v_mul_lo_u32 v14, v7, v14
	v_add_co_u32_e32 v13, vcc, v13, v14
	v_mul_hi_u32 v15, v7, v9
	v_addc_co_u32_e32 v12, vcc, v12, v16, vcc
	v_addc_co_u32_e32 v13, vcc, 0, v15, vcc
	v_mul_lo_u32 v9, v7, v9
	v_add_co_u32_e32 v9, vcc, v12, v9
	v_addc_co_u32_e32 v12, vcc, 0, v13, vcc
	v_add_co_u32_e32 v3, vcc, v3, v9
	v_addc_co_u32_e32 v7, vcc, v7, v12, vcc
	v_mul_lo_u32 v9, s4, v7
	v_mul_hi_u32 v12, s4, v3
	v_add_u32_e32 v9, v12, v9
	v_mul_lo_u32 v12, s5, v3
	v_add_u32_e32 v9, v9, v12
	v_mul_lo_u32 v13, s4, v3
	v_mul_hi_u32 v14, v7, v13
	v_mul_lo_u32 v15, v7, v13
	v_mul_lo_u32 v17, v3, v9
	v_mul_hi_u32 v13, v3, v13
	v_mul_hi_u32 v16, v3, v9
	v_add_co_u32_e32 v13, vcc, v13, v17
	v_addc_co_u32_e32 v16, vcc, 0, v16, vcc
	v_add_co_u32_e32 v13, vcc, v13, v15
	v_mul_hi_u32 v12, v7, v9
	v_addc_co_u32_e32 v13, vcc, v16, v14, vcc
	v_addc_co_u32_e32 v12, vcc, 0, v12, vcc
	v_mul_lo_u32 v9, v7, v9
	v_add_co_u32_e32 v9, vcc, v13, v9
	v_addc_co_u32_e32 v12, vcc, 0, v12, vcc
	v_add_co_u32_e32 v3, vcc, v3, v9
	v_addc_co_u32_e32 v7, vcc, v7, v12, vcc
	v_ashrrev_i32_e32 v9, 31, v11
	v_add_co_u32_e32 v10, vcc, v10, v9
	v_addc_co_u32_e32 v11, vcc, v11, v9, vcc
	v_xor_b32_e32 v15, v10, v9
	v_xor_b32_e32 v14, v11, v9
	v_mad_u64_u32 v[10:11], s[4:5], v15, v7, 0
	v_mul_hi_u32 v12, v15, v3
	v_add_co_u32_e32 v16, vcc, v12, v10
	v_addc_co_u32_e32 v17, vcc, 0, v11, vcc
	v_mad_u64_u32 v[12:13], s[4:5], v14, v3, 0
	v_add_co_u32_e32 v3, vcc, v16, v12
	v_mad_u64_u32 v[10:11], s[4:5], v14, v7, 0
	v_addc_co_u32_e32 v3, vcc, v17, v13, vcc
	v_addc_co_u32_e32 v7, vcc, 0, v11, vcc
	v_add_co_u32_e32 v3, vcc, v3, v10
	v_addc_co_u32_e32 v7, vcc, 0, v7, vcc
	v_mul_lo_u32 v12, s43, v3
	v_mul_lo_u32 v7, s42, v7
	v_mad_u64_u32 v[10:11], s[4:5], s42, v3, 0
	v_add3_u32 v7, v11, v7, v12
	v_sub_u32_e32 v11, v14, v7
	v_mov_b32_e32 v12, s43
	v_sub_co_u32_e32 v10, vcc, v15, v10
	v_subb_co_u32_e64 v11, s[4:5], v11, v12, vcc
	v_subrev_co_u32_e64 v12, s[4:5], s42, v10
	v_subbrev_co_u32_e64 v11, s[4:5], 0, v11, s[4:5]
	v_cmp_le_u32_e64 s[4:5], s43, v11
	v_subb_co_u32_e32 v7, vcc, v14, v7, vcc
	v_cndmask_b32_e64 v13, 0, -1, s[4:5]
	v_cmp_le_u32_e64 s[4:5], s42, v12
	v_cmp_le_u32_e32 vcc, s43, v7
	v_cndmask_b32_e64 v12, 0, -1, s[4:5]
	v_cmp_eq_u32_e64 s[4:5], s43, v11
	v_cndmask_b32_e64 v14, 0, -1, vcc
	v_cmp_le_u32_e32 vcc, s42, v10
	v_cndmask_b32_e64 v11, v13, v12, s[4:5]
	v_cndmask_b32_e64 v10, 0, -1, vcc
	v_cmp_eq_u32_e32 vcc, s43, v7
	v_add_co_u32_e64 v12, s[4:5], 2, v3
	v_add_co_u32_e64 v13, s[4:5], 1, v3
	v_cndmask_b32_e32 v7, v14, v10, vcc
	v_cmp_ne_u32_e32 vcc, 0, v11
	v_cndmask_b32_e32 v10, v13, v12, vcc
	v_cmp_ne_u32_e32 vcc, 0, v7
	v_cndmask_b32_e32 v3, v3, v10, vcc
	v_xor_b32_e32 v7, s40, v9
	v_xor_b32_e32 v3, v3, v7
	v_sub_co_u32_e32 v12, vcc, v3, v7
                                        ; implicit-def: $vgpr10_vgpr11
.LBB36_30:                              ;   in Loop: Header=BB36_20 Depth=1
	s_andn2_saveexec_b64 s[4:5], s[38:39]
	s_cbranch_execz .LBB36_18
; %bb.31:                               ;   in Loop: Header=BB36_20 Depth=1
	v_cvt_f32_u32_e32 v3, s33
	s_sub_i32 s38, 0, s33
	v_rcp_iflag_f32_e32 v3, v3
	v_mul_f32_e32 v3, 0x4f7ffffe, v3
	v_cvt_u32_f32_e32 v3, v3
	v_mul_lo_u32 v7, s38, v3
	v_mul_hi_u32 v7, v3, v7
	v_add_u32_e32 v3, v3, v7
	v_mul_hi_u32 v3, v10, v3
	v_mul_lo_u32 v7, v3, s33
	v_sub_u32_e32 v7, v10, v7
	v_add_u32_e32 v9, 1, v3
	v_subrev_u32_e32 v10, s33, v7
	v_cmp_le_u32_e32 vcc, s33, v7
	v_cndmask_b32_e32 v7, v7, v10, vcc
	v_cndmask_b32_e32 v3, v3, v9, vcc
	v_add_u32_e32 v9, 1, v3
	v_cmp_le_u32_e32 vcc, s33, v7
	v_cndmask_b32_e32 v12, v3, v9, vcc
	s_branch .LBB36_18
.LBB36_32:
	s_or_b64 exec, exec, s[6:7]
; %bb.33:
	s_barrier
	s_and_saveexec_b64 s[2:3], s[0:1]
	s_cbranch_execz .LBB36_36
; %bb.34:
	v_mad_u64_u32 v[4:5], s[0:1], s20, v0, 0
	v_mov_b32_e32 v6, v5
	v_mad_u64_u32 v[6:7], s[0:1], s21, v0, v[6:7]
	v_mov_b32_e32 v5, v6
	;; [unrolled: 2-line block ×3, first 2 shown]
	v_lshlrev_b64 v[4:5], 2, v[4:5]
	v_mad_u64_u32 v[8:9], s[0:1], s21, v2, v[8:9]
	v_mov_b32_e32 v3, s17
	v_add_co_u32_e32 v4, vcc, s16, v4
	v_mov_b32_e32 v7, v8
	v_addc_co_u32_e32 v5, vcc, v3, v5, vcc
	v_lshlrev_b64 v[6:7], 2, v[6:7]
	v_lshl_add_u32 v3, v0, 2, 0
	v_lshlrev_b32_e32 v8, 2, v2
	s_mov_b64 s[0:1], 0
.LBB36_35:                              ; =>This Inner Loop Header: Depth=1
	ds_read_b32 v9, v3
	v_add_co_u32_e32 v0, vcc, v0, v2
	v_addc_co_u32_e32 v1, vcc, 0, v1, vcc
	s_waitcnt lgkmcnt(0)
	global_atomic_add_f32 v[4:5], v9, off
	v_cmp_le_i64_e32 vcc, s[18:19], v[0:1]
	s_or_b64 s[0:1], vcc, s[0:1]
	v_add_co_u32_e32 v4, vcc, v4, v6
	v_add_u32_e32 v3, v3, v8
	v_addc_co_u32_e32 v5, vcc, v5, v7, vcc
	s_andn2_b64 exec, exec, s[0:1]
	s_cbranch_execnz .LBB36_35
.LBB36_36:
	s_endpgm
	.section	.rodata,"a",@progbits
	.p2align	6, 0x0
	.amdhsa_kernel _ZN2at4cuda17kernelHistogram1DIfllLi1ELi2ELin1ELNS0_23CUDAHistogramMemoryTypeE0EZNS0_21CUDA_tensor_histogramIflLb1EEEbNS_6TensorES4_S4_lNS_14AccumulateTypeIT0_Lb1EE4typeES8_NS0_13TensorArgTypeES9_S9_EUllE_EEvNS0_6detail10TensorInfoIT_T1_EESF_NSC_IKS6_SE_EElS8_S8_SE_T6_
		.amdhsa_group_segment_fixed_size 0
		.amdhsa_private_segment_fixed_size 0
		.amdhsa_kernarg_size 1952
		.amdhsa_user_sgpr_count 6
		.amdhsa_user_sgpr_private_segment_buffer 1
		.amdhsa_user_sgpr_dispatch_ptr 0
		.amdhsa_user_sgpr_queue_ptr 0
		.amdhsa_user_sgpr_kernarg_segment_ptr 1
		.amdhsa_user_sgpr_dispatch_id 0
		.amdhsa_user_sgpr_flat_scratch_init 0
		.amdhsa_user_sgpr_kernarg_preload_length 0
		.amdhsa_user_sgpr_kernarg_preload_offset 0
		.amdhsa_user_sgpr_private_segment_size 0
		.amdhsa_uses_dynamic_stack 0
		.amdhsa_system_sgpr_private_segment_wavefront_offset 0
		.amdhsa_system_sgpr_workgroup_id_x 1
		.amdhsa_system_sgpr_workgroup_id_y 0
		.amdhsa_system_sgpr_workgroup_id_z 0
		.amdhsa_system_sgpr_workgroup_info 0
		.amdhsa_system_vgpr_workitem_id 0
		.amdhsa_next_free_vgpr 22
		.amdhsa_next_free_sgpr 49
		.amdhsa_accum_offset 24
		.amdhsa_reserve_vcc 1
		.amdhsa_reserve_flat_scratch 0
		.amdhsa_float_round_mode_32 0
		.amdhsa_float_round_mode_16_64 0
		.amdhsa_float_denorm_mode_32 3
		.amdhsa_float_denorm_mode_16_64 3
		.amdhsa_dx10_clamp 1
		.amdhsa_ieee_mode 1
		.amdhsa_fp16_overflow 0
		.amdhsa_tg_split 0
		.amdhsa_exception_fp_ieee_invalid_op 0
		.amdhsa_exception_fp_denorm_src 0
		.amdhsa_exception_fp_ieee_div_zero 0
		.amdhsa_exception_fp_ieee_overflow 0
		.amdhsa_exception_fp_ieee_underflow 0
		.amdhsa_exception_fp_ieee_inexact 0
		.amdhsa_exception_int_div_zero 0
	.end_amdhsa_kernel
	.section	.text._ZN2at4cuda17kernelHistogram1DIfllLi1ELi2ELin1ELNS0_23CUDAHistogramMemoryTypeE0EZNS0_21CUDA_tensor_histogramIflLb1EEEbNS_6TensorES4_S4_lNS_14AccumulateTypeIT0_Lb1EE4typeES8_NS0_13TensorArgTypeES9_S9_EUllE_EEvNS0_6detail10TensorInfoIT_T1_EESF_NSC_IKS6_SE_EElS8_S8_SE_T6_,"axG",@progbits,_ZN2at4cuda17kernelHistogram1DIfllLi1ELi2ELin1ELNS0_23CUDAHistogramMemoryTypeE0EZNS0_21CUDA_tensor_histogramIflLb1EEEbNS_6TensorES4_S4_lNS_14AccumulateTypeIT0_Lb1EE4typeES8_NS0_13TensorArgTypeES9_S9_EUllE_EEvNS0_6detail10TensorInfoIT_T1_EESF_NSC_IKS6_SE_EElS8_S8_SE_T6_,comdat
.Lfunc_end36:
	.size	_ZN2at4cuda17kernelHistogram1DIfllLi1ELi2ELin1ELNS0_23CUDAHistogramMemoryTypeE0EZNS0_21CUDA_tensor_histogramIflLb1EEEbNS_6TensorES4_S4_lNS_14AccumulateTypeIT0_Lb1EE4typeES8_NS0_13TensorArgTypeES9_S9_EUllE_EEvNS0_6detail10TensorInfoIT_T1_EESF_NSC_IKS6_SE_EElS8_S8_SE_T6_, .Lfunc_end36-_ZN2at4cuda17kernelHistogram1DIfllLi1ELi2ELin1ELNS0_23CUDAHistogramMemoryTypeE0EZNS0_21CUDA_tensor_histogramIflLb1EEEbNS_6TensorES4_S4_lNS_14AccumulateTypeIT0_Lb1EE4typeES8_NS0_13TensorArgTypeES9_S9_EUllE_EEvNS0_6detail10TensorInfoIT_T1_EESF_NSC_IKS6_SE_EElS8_S8_SE_T6_
                                        ; -- End function
	.section	.AMDGPU.csdata,"",@progbits
; Kernel info:
; codeLenInByte = 3452
; NumSgprs: 53
; NumVgprs: 22
; NumAgprs: 0
; TotalNumVgprs: 22
; ScratchSize: 0
; MemoryBound: 0
; FloatMode: 240
; IeeeMode: 1
; LDSByteSize: 0 bytes/workgroup (compile time only)
; SGPRBlocks: 6
; VGPRBlocks: 2
; NumSGPRsForWavesPerEU: 53
; NumVGPRsForWavesPerEU: 22
; AccumOffset: 24
; Occupancy: 8
; WaveLimiterHint : 1
; COMPUTE_PGM_RSRC2:SCRATCH_EN: 0
; COMPUTE_PGM_RSRC2:USER_SGPR: 6
; COMPUTE_PGM_RSRC2:TRAP_HANDLER: 0
; COMPUTE_PGM_RSRC2:TGID_X_EN: 1
; COMPUTE_PGM_RSRC2:TGID_Y_EN: 0
; COMPUTE_PGM_RSRC2:TGID_Z_EN: 0
; COMPUTE_PGM_RSRC2:TIDIG_COMP_CNT: 0
; COMPUTE_PGM_RSRC3_GFX90A:ACCUM_OFFSET: 5
; COMPUTE_PGM_RSRC3_GFX90A:TG_SPLIT: 0
	.section	.text._ZN2at4cuda17kernelHistogram1DIfllLi1ELi2ELin1ELNS0_23CUDAHistogramMemoryTypeE1EZNS0_21CUDA_tensor_histogramIflLb1EEEbNS_6TensorES4_S4_lNS_14AccumulateTypeIT0_Lb1EE4typeES8_NS0_13TensorArgTypeES9_S9_EUllE_EEvNS0_6detail10TensorInfoIT_T1_EESF_NSC_IKS6_SE_EElS8_S8_SE_T6_,"axG",@progbits,_ZN2at4cuda17kernelHistogram1DIfllLi1ELi2ELin1ELNS0_23CUDAHistogramMemoryTypeE1EZNS0_21CUDA_tensor_histogramIflLb1EEEbNS_6TensorES4_S4_lNS_14AccumulateTypeIT0_Lb1EE4typeES8_NS0_13TensorArgTypeES9_S9_EUllE_EEvNS0_6detail10TensorInfoIT_T1_EESF_NSC_IKS6_SE_EElS8_S8_SE_T6_,comdat
	.protected	_ZN2at4cuda17kernelHistogram1DIfllLi1ELi2ELin1ELNS0_23CUDAHistogramMemoryTypeE1EZNS0_21CUDA_tensor_histogramIflLb1EEEbNS_6TensorES4_S4_lNS_14AccumulateTypeIT0_Lb1EE4typeES8_NS0_13TensorArgTypeES9_S9_EUllE_EEvNS0_6detail10TensorInfoIT_T1_EESF_NSC_IKS6_SE_EElS8_S8_SE_T6_ ; -- Begin function _ZN2at4cuda17kernelHistogram1DIfllLi1ELi2ELin1ELNS0_23CUDAHistogramMemoryTypeE1EZNS0_21CUDA_tensor_histogramIflLb1EEEbNS_6TensorES4_S4_lNS_14AccumulateTypeIT0_Lb1EE4typeES8_NS0_13TensorArgTypeES9_S9_EUllE_EEvNS0_6detail10TensorInfoIT_T1_EESF_NSC_IKS6_SE_EElS8_S8_SE_T6_
	.globl	_ZN2at4cuda17kernelHistogram1DIfllLi1ELi2ELin1ELNS0_23CUDAHistogramMemoryTypeE1EZNS0_21CUDA_tensor_histogramIflLb1EEEbNS_6TensorES4_S4_lNS_14AccumulateTypeIT0_Lb1EE4typeES8_NS0_13TensorArgTypeES9_S9_EUllE_EEvNS0_6detail10TensorInfoIT_T1_EESF_NSC_IKS6_SE_EElS8_S8_SE_T6_
	.p2align	8
	.type	_ZN2at4cuda17kernelHistogram1DIfllLi1ELi2ELin1ELNS0_23CUDAHistogramMemoryTypeE1EZNS0_21CUDA_tensor_histogramIflLb1EEEbNS_6TensorES4_S4_lNS_14AccumulateTypeIT0_Lb1EE4typeES8_NS0_13TensorArgTypeES9_S9_EUllE_EEvNS0_6detail10TensorInfoIT_T1_EESF_NSC_IKS6_SE_EElS8_S8_SE_T6_,@function
_ZN2at4cuda17kernelHistogram1DIfllLi1ELi2ELin1ELNS0_23CUDAHistogramMemoryTypeE1EZNS0_21CUDA_tensor_histogramIflLb1EEEbNS_6TensorES4_S4_lNS_14AccumulateTypeIT0_Lb1EE4typeES8_NS0_13TensorArgTypeES9_S9_EUllE_EEvNS0_6detail10TensorInfoIT_T1_EESF_NSC_IKS6_SE_EElS8_S8_SE_T6_: ; @_ZN2at4cuda17kernelHistogram1DIfllLi1ELi2ELin1ELNS0_23CUDAHistogramMemoryTypeE1EZNS0_21CUDA_tensor_histogramIflLb1EEEbNS_6TensorES4_S4_lNS_14AccumulateTypeIT0_Lb1EE4typeES8_NS0_13TensorArgTypeES9_S9_EUllE_EEvNS0_6detail10TensorInfoIT_T1_EESF_NSC_IKS6_SE_EElS8_S8_SE_T6_
; %bb.0:
	s_load_dword s2, s[4:5], 0x6ac
	s_load_dwordx8 s[8:15], s[4:5], 0x4e0
	s_add_u32 s0, s4, 0x6a0
	s_addc_u32 s1, s5, 0
	v_mov_b32_e32 v2, 0
	s_waitcnt lgkmcnt(0)
	s_and_b32 s2, s2, 0xffff
	s_mul_i32 s6, s6, s2
	v_add_u32_e32 v0, s6, v0
	v_mov_b32_e32 v1, v2
	v_cmp_gt_i64_e32 vcc, s[14:15], v[0:1]
	s_and_saveexec_b64 s[6:7], vcc
	s_cbranch_execz .LBB37_16
; %bb.1:
	s_load_dwordx2 s[6:7], s[4:5], 0x5d0
	s_load_dwordx2 s[16:17], s[4:5], 0x500
	s_load_dword s3, s[4:5], 0x4d8
	s_load_dwordx2 s[18:19], s[4:5], 0x0
	s_load_dwordx2 s[20:21], s[4:5], 0xd0
	s_load_dword s28, s[0:1], 0x0
	s_add_u32 s26, s4, 0x340
	s_addc_u32 s27, s5, 0
	s_mov_b32 s42, 0
	s_waitcnt lgkmcnt(0)
	s_cmp_gt_i32 s3, 1
	s_cselect_b64 s[0:1], -1, 0
	s_sub_u32 s33, s12, s10
	s_subb_u32 s40, s13, s11
	s_mul_i32 s41, s28, s2
	s_add_i32 s43, s3, 1
	s_add_i32 s2, s3, -1
	s_mov_b32 s3, s42
	s_load_dwordx2 s[22:23], s[4:5], 0x410
	s_load_dwordx2 s[24:25], s[4:5], 0x340
	s_lshl_b64 s[2:3], s[2:3], 3
	s_add_u32 s2, s2, s26
	s_addc_u32 s3, s3, s27
	s_add_u32 s4, s2, 8
	v_cndmask_b32_e64 v3, 0, 1, s[0:1]
	s_addc_u32 s5, s3, 0
	s_mov_b64 s[26:27], 0
	v_cmp_ne_u32_e64 s[0:1], 1, v3
	s_branch .LBB37_4
.LBB37_2:                               ;   in Loop: Header=BB37_4 Depth=1
	s_or_b64 exec, exec, s[2:3]
	v_mul_lo_u32 v3, v1, s6
	v_mul_lo_u32 v7, v0, s7
	v_mad_u64_u32 v[4:5], s[2:3], v0, s6, 0
	v_add3_u32 v5, v5, v7, v3
	v_lshlrev_b64 v[4:5], 2, v[4:5]
	v_mov_b32_e32 v3, s17
	v_add_co_u32_e32 v4, vcc, s16, v4
	v_addc_co_u32_e32 v5, vcc, v3, v5, vcc
	global_load_dword v3, v[4:5], off
	v_ashrrev_i32_e32 v7, 31, v6
	v_cmp_eq_u64_e32 vcc, s[8:9], v[6:7]
	v_cndmask_b32_e64 v4, 0, 1, vcc
	v_sub_co_u32_e32 v4, vcc, v6, v4
	v_subbrev_co_u32_e32 v5, vcc, 0, v7, vcc
	v_mul_lo_u32 v6, v5, s20
	v_mul_lo_u32 v7, v4, s21
	v_mad_u64_u32 v[4:5], s[2:3], v4, s20, 0
	v_add3_u32 v5, v5, v7, v6
	v_lshlrev_b64 v[4:5], 2, v[4:5]
	v_mov_b32_e32 v6, s19
	v_add_co_u32_e32 v4, vcc, s18, v4
	v_addc_co_u32_e32 v5, vcc, v6, v5, vcc
	s_waitcnt vmcnt(0)
	global_atomic_add_f32 v[4:5], v3, off
.LBB37_3:                               ;   in Loop: Header=BB37_4 Depth=1
	s_or_b64 exec, exec, s[28:29]
	v_mov_b32_e32 v3, s42
	v_add_co_u32_e32 v0, vcc, s41, v0
	v_addc_co_u32_e32 v1, vcc, v1, v3, vcc
	v_cmp_le_i64_e32 vcc, s[14:15], v[0:1]
	s_or_b64 s[26:27], vcc, s[26:27]
	s_andn2_b64 exec, exec, s[26:27]
	s_cbranch_execz .LBB37_16
.LBB37_4:                               ; =>This Loop Header: Depth=1
                                        ;     Child Loop BB37_5 Depth 2
	s_and_b64 vcc, exec, s[0:1]
	v_pk_mov_b32 v[4:5], 0, 0
	s_mov_b64 s[28:29], s[4:5]
	s_mov_b32 s44, s43
	v_pk_mov_b32 v[6:7], v[0:1], v[0:1] op_sel:[0,1]
	v_pk_mov_b32 v[8:9], v[0:1], v[0:1] op_sel:[0,1]
	s_cbranch_vccnz .LBB37_11
.LBB37_5:                               ;   Parent Loop BB37_4 Depth=1
                                        ; =>  This Inner Loop Header: Depth=2
	s_load_dwordx2 s[30:31], s[28:29], 0x0
                                        ; implicit-def: $vgpr8_vgpr9
	s_waitcnt lgkmcnt(0)
	v_or_b32_e32 v3, s31, v7
	v_cmp_ne_u64_e32 vcc, 0, v[2:3]
	s_and_saveexec_b64 s[2:3], vcc
	s_xor_b64 s[34:35], exec, s[2:3]
	s_cbranch_execz .LBB37_7
; %bb.6:                                ;   in Loop: Header=BB37_5 Depth=2
	s_ashr_i32 s36, s31, 31
	s_add_u32 s2, s30, s36
	s_mov_b32 s37, s36
	s_addc_u32 s3, s31, s36
	s_xor_b64 s[38:39], s[2:3], s[36:37]
	v_cvt_f32_u32_e32 v3, s38
	v_cvt_f32_u32_e32 v8, s39
	s_sub_u32 s2, 0, s38
	s_subb_u32 s3, 0, s39
	v_mac_f32_e32 v3, 0x4f800000, v8
	v_rcp_f32_e32 v3, v3
	v_mul_f32_e32 v3, 0x5f7ffffc, v3
	v_mul_f32_e32 v8, 0x2f800000, v3
	v_trunc_f32_e32 v8, v8
	v_mac_f32_e32 v3, 0xcf800000, v8
	v_cvt_u32_f32_e32 v8, v8
	v_cvt_u32_f32_e32 v3, v3
	v_mul_lo_u32 v9, s2, v8
	v_mul_hi_u32 v11, s2, v3
	v_mul_lo_u32 v10, s3, v3
	v_add_u32_e32 v9, v11, v9
	v_mul_lo_u32 v12, s2, v3
	v_add_u32_e32 v9, v9, v10
	v_mul_lo_u32 v11, v3, v9
	v_mul_hi_u32 v13, v3, v12
	v_mul_hi_u32 v10, v3, v9
	v_add_co_u32_e32 v11, vcc, v13, v11
	v_addc_co_u32_e32 v10, vcc, 0, v10, vcc
	v_mul_hi_u32 v14, v8, v12
	v_mul_lo_u32 v12, v8, v12
	v_add_co_u32_e32 v11, vcc, v11, v12
	v_mul_hi_u32 v13, v8, v9
	v_addc_co_u32_e32 v10, vcc, v10, v14, vcc
	v_addc_co_u32_e32 v11, vcc, 0, v13, vcc
	v_mul_lo_u32 v9, v8, v9
	v_add_co_u32_e32 v9, vcc, v10, v9
	v_addc_co_u32_e32 v10, vcc, 0, v11, vcc
	v_add_co_u32_e32 v3, vcc, v3, v9
	v_addc_co_u32_e32 v8, vcc, v8, v10, vcc
	v_mul_lo_u32 v9, s2, v8
	v_mul_hi_u32 v10, s2, v3
	v_add_u32_e32 v9, v10, v9
	v_mul_lo_u32 v10, s3, v3
	v_add_u32_e32 v9, v9, v10
	v_mul_lo_u32 v11, s2, v3
	v_mul_hi_u32 v12, v8, v11
	v_mul_lo_u32 v13, v8, v11
	v_mul_lo_u32 v15, v3, v9
	v_mul_hi_u32 v11, v3, v11
	v_mul_hi_u32 v14, v3, v9
	v_add_co_u32_e32 v11, vcc, v11, v15
	v_addc_co_u32_e32 v14, vcc, 0, v14, vcc
	v_add_co_u32_e32 v11, vcc, v11, v13
	v_mul_hi_u32 v10, v8, v9
	v_addc_co_u32_e32 v11, vcc, v14, v12, vcc
	v_addc_co_u32_e32 v10, vcc, 0, v10, vcc
	v_mul_lo_u32 v9, v8, v9
	v_add_co_u32_e32 v9, vcc, v11, v9
	v_addc_co_u32_e32 v10, vcc, 0, v10, vcc
	v_add_co_u32_e32 v3, vcc, v3, v9
	v_addc_co_u32_e32 v10, vcc, v8, v10, vcc
	v_ashrrev_i32_e32 v12, 31, v7
	v_add_co_u32_e32 v8, vcc, v6, v12
	v_addc_co_u32_e32 v9, vcc, v7, v12, vcc
	v_xor_b32_e32 v14, v8, v12
	v_xor_b32_e32 v13, v9, v12
	v_mad_u64_u32 v[8:9], s[2:3], v14, v10, 0
	v_mul_hi_u32 v11, v14, v3
	v_add_co_u32_e32 v15, vcc, v11, v8
	v_addc_co_u32_e32 v16, vcc, 0, v9, vcc
	v_mad_u64_u32 v[8:9], s[2:3], v13, v10, 0
	v_mad_u64_u32 v[10:11], s[2:3], v13, v3, 0
	v_add_co_u32_e32 v3, vcc, v15, v10
	v_addc_co_u32_e32 v3, vcc, v16, v11, vcc
	v_addc_co_u32_e32 v9, vcc, 0, v9, vcc
	v_add_co_u32_e32 v3, vcc, v3, v8
	v_addc_co_u32_e32 v10, vcc, 0, v9, vcc
	v_mul_lo_u32 v11, s39, v3
	v_mul_lo_u32 v15, s38, v10
	v_mad_u64_u32 v[8:9], s[2:3], s38, v3, 0
	v_add3_u32 v9, v9, v15, v11
	v_sub_u32_e32 v11, v13, v9
	v_mov_b32_e32 v15, s39
	v_sub_co_u32_e32 v8, vcc, v14, v8
	v_subb_co_u32_e64 v11, s[2:3], v11, v15, vcc
	v_subrev_co_u32_e64 v14, s[2:3], s38, v8
	v_subbrev_co_u32_e64 v11, s[2:3], 0, v11, s[2:3]
	v_cmp_le_u32_e64 s[2:3], s39, v11
	v_cndmask_b32_e64 v15, 0, -1, s[2:3]
	v_cmp_le_u32_e64 s[2:3], s38, v14
	v_cndmask_b32_e64 v14, 0, -1, s[2:3]
	v_cmp_eq_u32_e64 s[2:3], s39, v11
	v_cndmask_b32_e64 v11, v15, v14, s[2:3]
	v_add_co_u32_e64 v14, s[2:3], 2, v3
	v_subb_co_u32_e32 v9, vcc, v13, v9, vcc
	v_addc_co_u32_e64 v15, s[2:3], 0, v10, s[2:3]
	v_cmp_le_u32_e32 vcc, s39, v9
	v_add_co_u32_e64 v16, s[2:3], 1, v3
	v_cndmask_b32_e64 v13, 0, -1, vcc
	v_cmp_le_u32_e32 vcc, s38, v8
	v_addc_co_u32_e64 v17, s[2:3], 0, v10, s[2:3]
	v_cndmask_b32_e64 v8, 0, -1, vcc
	v_cmp_eq_u32_e32 vcc, s39, v9
	v_cmp_ne_u32_e64 s[2:3], 0, v11
	v_cndmask_b32_e32 v8, v13, v8, vcc
	v_cmp_ne_u32_e32 vcc, 0, v8
	v_cndmask_b32_e64 v9, v16, v14, s[2:3]
	v_cndmask_b32_e64 v11, v17, v15, s[2:3]
	v_cndmask_b32_e32 v3, v3, v9, vcc
	v_xor_b32_e32 v9, s36, v12
	v_cndmask_b32_e32 v8, v10, v11, vcc
	v_xor_b32_e32 v3, v3, v9
	v_xor_b32_e32 v10, v8, v9
	v_sub_co_u32_e32 v8, vcc, v3, v9
	v_subb_co_u32_e32 v9, vcc, v10, v9, vcc
.LBB37_7:                               ;   in Loop: Header=BB37_5 Depth=2
	s_andn2_saveexec_b64 s[2:3], s[34:35]
	s_cbranch_execz .LBB37_9
; %bb.8:                                ;   in Loop: Header=BB37_5 Depth=2
	v_cvt_f32_u32_e32 v3, s30
	s_sub_i32 s34, 0, s30
	v_rcp_iflag_f32_e32 v3, v3
	v_mul_f32_e32 v3, 0x4f7ffffe, v3
	v_cvt_u32_f32_e32 v3, v3
	v_mul_lo_u32 v8, s34, v3
	v_mul_hi_u32 v8, v3, v8
	v_add_u32_e32 v3, v3, v8
	v_mul_hi_u32 v3, v6, v3
	v_mul_lo_u32 v8, v3, s30
	v_sub_u32_e32 v8, v6, v8
	v_add_u32_e32 v9, 1, v3
	v_subrev_u32_e32 v10, s30, v8
	v_cmp_le_u32_e32 vcc, s30, v8
	v_cndmask_b32_e32 v8, v8, v10, vcc
	v_cndmask_b32_e32 v3, v3, v9, vcc
	v_add_u32_e32 v9, 1, v3
	v_cmp_le_u32_e32 vcc, s30, v8
	v_cndmask_b32_e32 v8, v3, v9, vcc
	v_mov_b32_e32 v9, v2
.LBB37_9:                               ;   in Loop: Header=BB37_5 Depth=2
	s_or_b64 exec, exec, s[2:3]
	v_mad_u64_u32 v[10:11], s[2:3], v8, s30, 0
	s_load_dwordx2 s[2:3], s[28:29], 0xc8
	v_mul_lo_u32 v3, v9, s30
	v_mul_lo_u32 v12, v8, s31
	v_add3_u32 v3, v11, v12, v3
	v_sub_co_u32_e32 v6, vcc, v6, v10
	s_add_i32 s44, s44, -1
	v_subb_co_u32_e32 v3, vcc, v7, v3, vcc
	s_add_u32 s28, s28, -8
	s_waitcnt lgkmcnt(0)
	v_mul_lo_u32 v3, s2, v3
	v_mul_lo_u32 v7, s3, v6
	v_mad_u64_u32 v[4:5], s[2:3], s2, v6, v[4:5]
	s_addc_u32 s29, s29, -1
	s_cmp_gt_u32 s44, 2
	v_add3_u32 v5, v7, v5, v3
	s_cbranch_scc0 .LBB37_11
; %bb.10:                               ;   in Loop: Header=BB37_5 Depth=2
	v_pk_mov_b32 v[6:7], v[8:9], v[8:9] op_sel:[0,1]
	s_branch .LBB37_5
.LBB37_11:                              ;   in Loop: Header=BB37_4 Depth=1
	s_waitcnt lgkmcnt(0)
	v_mul_lo_u32 v3, s23, v8
	v_mul_lo_u32 v9, s22, v9
	v_mad_u64_u32 v[6:7], s[2:3], s22, v8, 0
	v_add3_u32 v7, v7, v9, v3
	v_lshlrev_b64 v[6:7], 3, v[6:7]
	v_mov_b32_e32 v3, s25
	v_add_co_u32_e32 v6, vcc, s24, v6
	v_addc_co_u32_e32 v3, vcc, v3, v7, vcc
	v_lshlrev_b64 v[4:5], 3, v[4:5]
	v_add_co_u32_e32 v4, vcc, v6, v4
	v_addc_co_u32_e32 v5, vcc, v3, v5, vcc
	global_load_dwordx2 v[4:5], v[4:5], off
	s_waitcnt vmcnt(0)
	v_cmp_le_i64_e32 vcc, s[10:11], v[4:5]
	v_cmp_ge_i64_e64 s[2:3], s[12:13], v[4:5]
	s_and_b64 s[2:3], vcc, s[2:3]
	s_and_saveexec_b64 s[28:29], s[2:3]
	s_cbranch_execz .LBB37_3
; %bb.12:                               ;   in Loop: Header=BB37_4 Depth=1
	v_mov_b32_e32 v3, s11
	v_subrev_co_u32_e32 v4, vcc, s10, v4
	v_subb_co_u32_e32 v3, vcc, v5, v3, vcc
	v_mul_lo_u32 v3, v3, s8
	v_mul_lo_u32 v6, v4, s9
	v_mad_u64_u32 v[4:5], s[2:3], v4, s8, 0
	v_add3_u32 v5, v5, v6, v3
	v_or_b32_e32 v3, s40, v5
	v_cmp_ne_u64_e32 vcc, 0, v[2:3]
                                        ; implicit-def: $vgpr6_vgpr7
	s_and_saveexec_b64 s[2:3], vcc
	s_xor_b64 s[30:31], exec, s[2:3]
	s_cbranch_execz .LBB37_14
; %bb.13:                               ;   in Loop: Header=BB37_4 Depth=1
	s_ashr_i32 s34, s40, 31
	s_add_u32 s2, s33, s34
	s_mov_b32 s35, s34
	s_addc_u32 s3, s40, s34
	s_xor_b64 s[36:37], s[2:3], s[34:35]
	v_cvt_f32_u32_e32 v3, s36
	v_cvt_f32_u32_e32 v6, s37
	s_sub_u32 s2, 0, s36
	s_subb_u32 s3, 0, s37
	v_mac_f32_e32 v3, 0x4f800000, v6
	v_rcp_f32_e32 v3, v3
	v_mul_f32_e32 v3, 0x5f7ffffc, v3
	v_mul_f32_e32 v6, 0x2f800000, v3
	v_trunc_f32_e32 v6, v6
	v_mac_f32_e32 v3, 0xcf800000, v6
	v_cvt_u32_f32_e32 v6, v6
	v_cvt_u32_f32_e32 v3, v3
	v_mul_lo_u32 v7, s2, v6
	v_mul_hi_u32 v9, s2, v3
	v_mul_lo_u32 v8, s3, v3
	v_add_u32_e32 v7, v9, v7
	v_mul_lo_u32 v10, s2, v3
	v_add_u32_e32 v7, v7, v8
	v_mul_lo_u32 v9, v3, v7
	v_mul_hi_u32 v11, v3, v10
	v_mul_hi_u32 v8, v3, v7
	v_add_co_u32_e32 v9, vcc, v11, v9
	v_addc_co_u32_e32 v8, vcc, 0, v8, vcc
	v_mul_hi_u32 v12, v6, v10
	v_mul_lo_u32 v10, v6, v10
	v_add_co_u32_e32 v9, vcc, v9, v10
	v_mul_hi_u32 v11, v6, v7
	v_addc_co_u32_e32 v8, vcc, v8, v12, vcc
	v_addc_co_u32_e32 v9, vcc, 0, v11, vcc
	v_mul_lo_u32 v7, v6, v7
	v_add_co_u32_e32 v7, vcc, v8, v7
	v_addc_co_u32_e32 v8, vcc, 0, v9, vcc
	v_add_co_u32_e32 v3, vcc, v3, v7
	v_addc_co_u32_e32 v6, vcc, v6, v8, vcc
	v_mul_lo_u32 v7, s2, v6
	v_mul_hi_u32 v8, s2, v3
	v_add_u32_e32 v7, v8, v7
	v_mul_lo_u32 v8, s3, v3
	v_add_u32_e32 v7, v7, v8
	v_mul_lo_u32 v9, s2, v3
	v_mul_hi_u32 v10, v6, v9
	v_mul_lo_u32 v11, v6, v9
	v_mul_lo_u32 v13, v3, v7
	v_mul_hi_u32 v9, v3, v9
	v_mul_hi_u32 v12, v3, v7
	v_add_co_u32_e32 v9, vcc, v9, v13
	v_addc_co_u32_e32 v12, vcc, 0, v12, vcc
	v_add_co_u32_e32 v9, vcc, v9, v11
	v_mul_hi_u32 v8, v6, v7
	v_addc_co_u32_e32 v9, vcc, v12, v10, vcc
	v_addc_co_u32_e32 v8, vcc, 0, v8, vcc
	v_mul_lo_u32 v7, v6, v7
	v_add_co_u32_e32 v7, vcc, v9, v7
	v_addc_co_u32_e32 v8, vcc, 0, v8, vcc
	v_add_co_u32_e32 v3, vcc, v3, v7
	v_addc_co_u32_e32 v6, vcc, v6, v8, vcc
	v_ashrrev_i32_e32 v8, 31, v5
	v_add_co_u32_e32 v4, vcc, v4, v8
	v_addc_co_u32_e32 v5, vcc, v5, v8, vcc
	v_xor_b32_e32 v10, v4, v8
	v_xor_b32_e32 v9, v5, v8
	v_mad_u64_u32 v[4:5], s[2:3], v10, v6, 0
	v_mul_hi_u32 v7, v10, v3
	v_add_co_u32_e32 v11, vcc, v7, v4
	v_addc_co_u32_e32 v12, vcc, 0, v5, vcc
	v_mad_u64_u32 v[4:5], s[2:3], v9, v6, 0
	v_mad_u64_u32 v[6:7], s[2:3], v9, v3, 0
	v_add_co_u32_e32 v3, vcc, v11, v6
	v_addc_co_u32_e32 v3, vcc, v12, v7, vcc
	v_addc_co_u32_e32 v5, vcc, 0, v5, vcc
	v_add_co_u32_e32 v3, vcc, v3, v4
	v_addc_co_u32_e32 v4, vcc, 0, v5, vcc
	v_mul_lo_u32 v6, s37, v3
	v_mul_lo_u32 v7, s36, v4
	v_mad_u64_u32 v[4:5], s[2:3], s36, v3, 0
	v_add3_u32 v5, v5, v7, v6
	v_sub_u32_e32 v6, v9, v5
	v_mov_b32_e32 v7, s37
	v_sub_co_u32_e32 v4, vcc, v10, v4
	v_subb_co_u32_e64 v6, s[2:3], v6, v7, vcc
	v_subrev_co_u32_e64 v7, s[2:3], s36, v4
	v_subbrev_co_u32_e64 v6, s[2:3], 0, v6, s[2:3]
	v_cmp_le_u32_e64 s[2:3], s37, v6
	v_subb_co_u32_e32 v5, vcc, v9, v5, vcc
	v_cndmask_b32_e64 v10, 0, -1, s[2:3]
	v_cmp_le_u32_e64 s[2:3], s36, v7
	v_cmp_le_u32_e32 vcc, s37, v5
	v_cndmask_b32_e64 v7, 0, -1, s[2:3]
	v_cmp_eq_u32_e64 s[2:3], s37, v6
	v_cndmask_b32_e64 v9, 0, -1, vcc
	v_cmp_le_u32_e32 vcc, s36, v4
	v_cndmask_b32_e64 v6, v10, v7, s[2:3]
	v_cndmask_b32_e64 v4, 0, -1, vcc
	v_cmp_eq_u32_e32 vcc, s37, v5
	v_add_co_u32_e64 v7, s[2:3], 2, v3
	v_add_co_u32_e64 v10, s[2:3], 1, v3
	v_cndmask_b32_e32 v4, v9, v4, vcc
	v_cmp_ne_u32_e32 vcc, 0, v6
	v_cndmask_b32_e32 v5, v10, v7, vcc
	v_cmp_ne_u32_e32 vcc, 0, v4
	v_cndmask_b32_e32 v3, v3, v5, vcc
	v_xor_b32_e32 v4, s34, v8
	v_xor_b32_e32 v3, v3, v4
	v_sub_co_u32_e32 v6, vcc, v3, v4
                                        ; implicit-def: $vgpr4_vgpr5
.LBB37_14:                              ;   in Loop: Header=BB37_4 Depth=1
	s_andn2_saveexec_b64 s[2:3], s[30:31]
	s_cbranch_execz .LBB37_2
; %bb.15:                               ;   in Loop: Header=BB37_4 Depth=1
	v_cvt_f32_u32_e32 v3, s33
	s_sub_i32 s30, 0, s33
	v_rcp_iflag_f32_e32 v3, v3
	v_mul_f32_e32 v3, 0x4f7ffffe, v3
	v_cvt_u32_f32_e32 v3, v3
	v_mul_lo_u32 v5, s30, v3
	v_mul_hi_u32 v5, v3, v5
	v_add_u32_e32 v3, v3, v5
	v_mul_hi_u32 v3, v4, v3
	v_mul_lo_u32 v5, v3, s33
	v_sub_u32_e32 v4, v4, v5
	v_add_u32_e32 v6, 1, v3
	v_subrev_u32_e32 v5, s33, v4
	v_cmp_le_u32_e32 vcc, s33, v4
	v_cndmask_b32_e32 v4, v4, v5, vcc
	v_cndmask_b32_e32 v3, v3, v6, vcc
	v_add_u32_e32 v5, 1, v3
	v_cmp_le_u32_e32 vcc, s33, v4
	v_cndmask_b32_e32 v6, v3, v5, vcc
	s_branch .LBB37_2
.LBB37_16:
	s_endpgm
	.section	.rodata,"a",@progbits
	.p2align	6, 0x0
	.amdhsa_kernel _ZN2at4cuda17kernelHistogram1DIfllLi1ELi2ELin1ELNS0_23CUDAHistogramMemoryTypeE1EZNS0_21CUDA_tensor_histogramIflLb1EEEbNS_6TensorES4_S4_lNS_14AccumulateTypeIT0_Lb1EE4typeES8_NS0_13TensorArgTypeES9_S9_EUllE_EEvNS0_6detail10TensorInfoIT_T1_EESF_NSC_IKS6_SE_EElS8_S8_SE_T6_
		.amdhsa_group_segment_fixed_size 0
		.amdhsa_private_segment_fixed_size 0
		.amdhsa_kernarg_size 1952
		.amdhsa_user_sgpr_count 6
		.amdhsa_user_sgpr_private_segment_buffer 1
		.amdhsa_user_sgpr_dispatch_ptr 0
		.amdhsa_user_sgpr_queue_ptr 0
		.amdhsa_user_sgpr_kernarg_segment_ptr 1
		.amdhsa_user_sgpr_dispatch_id 0
		.amdhsa_user_sgpr_flat_scratch_init 0
		.amdhsa_user_sgpr_kernarg_preload_length 0
		.amdhsa_user_sgpr_kernarg_preload_offset 0
		.amdhsa_user_sgpr_private_segment_size 0
		.amdhsa_uses_dynamic_stack 0
		.amdhsa_system_sgpr_private_segment_wavefront_offset 0
		.amdhsa_system_sgpr_workgroup_id_x 1
		.amdhsa_system_sgpr_workgroup_id_y 0
		.amdhsa_system_sgpr_workgroup_id_z 0
		.amdhsa_system_sgpr_workgroup_info 0
		.amdhsa_system_vgpr_workitem_id 0
		.amdhsa_next_free_vgpr 18
		.amdhsa_next_free_sgpr 45
		.amdhsa_accum_offset 20
		.amdhsa_reserve_vcc 1
		.amdhsa_reserve_flat_scratch 0
		.amdhsa_float_round_mode_32 0
		.amdhsa_float_round_mode_16_64 0
		.amdhsa_float_denorm_mode_32 3
		.amdhsa_float_denorm_mode_16_64 3
		.amdhsa_dx10_clamp 1
		.amdhsa_ieee_mode 1
		.amdhsa_fp16_overflow 0
		.amdhsa_tg_split 0
		.amdhsa_exception_fp_ieee_invalid_op 0
		.amdhsa_exception_fp_denorm_src 0
		.amdhsa_exception_fp_ieee_div_zero 0
		.amdhsa_exception_fp_ieee_overflow 0
		.amdhsa_exception_fp_ieee_underflow 0
		.amdhsa_exception_fp_ieee_inexact 0
		.amdhsa_exception_int_div_zero 0
	.end_amdhsa_kernel
	.section	.text._ZN2at4cuda17kernelHistogram1DIfllLi1ELi2ELin1ELNS0_23CUDAHistogramMemoryTypeE1EZNS0_21CUDA_tensor_histogramIflLb1EEEbNS_6TensorES4_S4_lNS_14AccumulateTypeIT0_Lb1EE4typeES8_NS0_13TensorArgTypeES9_S9_EUllE_EEvNS0_6detail10TensorInfoIT_T1_EESF_NSC_IKS6_SE_EElS8_S8_SE_T6_,"axG",@progbits,_ZN2at4cuda17kernelHistogram1DIfllLi1ELi2ELin1ELNS0_23CUDAHistogramMemoryTypeE1EZNS0_21CUDA_tensor_histogramIflLb1EEEbNS_6TensorES4_S4_lNS_14AccumulateTypeIT0_Lb1EE4typeES8_NS0_13TensorArgTypeES9_S9_EUllE_EEvNS0_6detail10TensorInfoIT_T1_EESF_NSC_IKS6_SE_EElS8_S8_SE_T6_,comdat
.Lfunc_end37:
	.size	_ZN2at4cuda17kernelHistogram1DIfllLi1ELi2ELin1ELNS0_23CUDAHistogramMemoryTypeE1EZNS0_21CUDA_tensor_histogramIflLb1EEEbNS_6TensorES4_S4_lNS_14AccumulateTypeIT0_Lb1EE4typeES8_NS0_13TensorArgTypeES9_S9_EUllE_EEvNS0_6detail10TensorInfoIT_T1_EESF_NSC_IKS6_SE_EElS8_S8_SE_T6_, .Lfunc_end37-_ZN2at4cuda17kernelHistogram1DIfllLi1ELi2ELin1ELNS0_23CUDAHistogramMemoryTypeE1EZNS0_21CUDA_tensor_histogramIflLb1EEEbNS_6TensorES4_S4_lNS_14AccumulateTypeIT0_Lb1EE4typeES8_NS0_13TensorArgTypeES9_S9_EUllE_EEvNS0_6detail10TensorInfoIT_T1_EESF_NSC_IKS6_SE_EElS8_S8_SE_T6_
                                        ; -- End function
	.section	.AMDGPU.csdata,"",@progbits
; Kernel info:
; codeLenInByte = 2288
; NumSgprs: 49
; NumVgprs: 18
; NumAgprs: 0
; TotalNumVgprs: 18
; ScratchSize: 0
; MemoryBound: 0
; FloatMode: 240
; IeeeMode: 1
; LDSByteSize: 0 bytes/workgroup (compile time only)
; SGPRBlocks: 6
; VGPRBlocks: 2
; NumSGPRsForWavesPerEU: 49
; NumVGPRsForWavesPerEU: 18
; AccumOffset: 20
; Occupancy: 8
; WaveLimiterHint : 1
; COMPUTE_PGM_RSRC2:SCRATCH_EN: 0
; COMPUTE_PGM_RSRC2:USER_SGPR: 6
; COMPUTE_PGM_RSRC2:TRAP_HANDLER: 0
; COMPUTE_PGM_RSRC2:TGID_X_EN: 1
; COMPUTE_PGM_RSRC2:TGID_Y_EN: 0
; COMPUTE_PGM_RSRC2:TGID_Z_EN: 0
; COMPUTE_PGM_RSRC2:TIDIG_COMP_CNT: 0
; COMPUTE_PGM_RSRC3_GFX90A:ACCUM_OFFSET: 4
; COMPUTE_PGM_RSRC3_GFX90A:TG_SPLIT: 0
	.section	.text._ZN2at4cuda17kernelHistogram1DIfllLi1ELi2ELin1ELNS0_23CUDAHistogramMemoryTypeE0EZNS0_21CUDA_tensor_histogramIflLb1EEEbNS_6TensorES4_S4_lNS_14AccumulateTypeIT0_Lb1EE4typeES8_NS0_13TensorArgTypeES9_S9_EUllE0_EEvNS0_6detail10TensorInfoIT_T1_EESF_NSC_IKS6_SE_EElS8_S8_SE_T6_,"axG",@progbits,_ZN2at4cuda17kernelHistogram1DIfllLi1ELi2ELin1ELNS0_23CUDAHistogramMemoryTypeE0EZNS0_21CUDA_tensor_histogramIflLb1EEEbNS_6TensorES4_S4_lNS_14AccumulateTypeIT0_Lb1EE4typeES8_NS0_13TensorArgTypeES9_S9_EUllE0_EEvNS0_6detail10TensorInfoIT_T1_EESF_NSC_IKS6_SE_EElS8_S8_SE_T6_,comdat
	.protected	_ZN2at4cuda17kernelHistogram1DIfllLi1ELi2ELin1ELNS0_23CUDAHistogramMemoryTypeE0EZNS0_21CUDA_tensor_histogramIflLb1EEEbNS_6TensorES4_S4_lNS_14AccumulateTypeIT0_Lb1EE4typeES8_NS0_13TensorArgTypeES9_S9_EUllE0_EEvNS0_6detail10TensorInfoIT_T1_EESF_NSC_IKS6_SE_EElS8_S8_SE_T6_ ; -- Begin function _ZN2at4cuda17kernelHistogram1DIfllLi1ELi2ELin1ELNS0_23CUDAHistogramMemoryTypeE0EZNS0_21CUDA_tensor_histogramIflLb1EEEbNS_6TensorES4_S4_lNS_14AccumulateTypeIT0_Lb1EE4typeES8_NS0_13TensorArgTypeES9_S9_EUllE0_EEvNS0_6detail10TensorInfoIT_T1_EESF_NSC_IKS6_SE_EElS8_S8_SE_T6_
	.globl	_ZN2at4cuda17kernelHistogram1DIfllLi1ELi2ELin1ELNS0_23CUDAHistogramMemoryTypeE0EZNS0_21CUDA_tensor_histogramIflLb1EEEbNS_6TensorES4_S4_lNS_14AccumulateTypeIT0_Lb1EE4typeES8_NS0_13TensorArgTypeES9_S9_EUllE0_EEvNS0_6detail10TensorInfoIT_T1_EESF_NSC_IKS6_SE_EElS8_S8_SE_T6_
	.p2align	8
	.type	_ZN2at4cuda17kernelHistogram1DIfllLi1ELi2ELin1ELNS0_23CUDAHistogramMemoryTypeE0EZNS0_21CUDA_tensor_histogramIflLb1EEEbNS_6TensorES4_S4_lNS_14AccumulateTypeIT0_Lb1EE4typeES8_NS0_13TensorArgTypeES9_S9_EUllE0_EEvNS0_6detail10TensorInfoIT_T1_EESF_NSC_IKS6_SE_EElS8_S8_SE_T6_,@function
_ZN2at4cuda17kernelHistogram1DIfllLi1ELi2ELin1ELNS0_23CUDAHistogramMemoryTypeE0EZNS0_21CUDA_tensor_histogramIflLb1EEEbNS_6TensorES4_S4_lNS_14AccumulateTypeIT0_Lb1EE4typeES8_NS0_13TensorArgTypeES9_S9_EUllE0_EEvNS0_6detail10TensorInfoIT_T1_EESF_NSC_IKS6_SE_EElS8_S8_SE_T6_: ; @_ZN2at4cuda17kernelHistogram1DIfllLi1ELi2ELin1ELNS0_23CUDAHistogramMemoryTypeE0EZNS0_21CUDA_tensor_histogramIflLb1EEEbNS_6TensorES4_S4_lNS_14AccumulateTypeIT0_Lb1EE4typeES8_NS0_13TensorArgTypeES9_S9_EUllE0_EEvNS0_6detail10TensorInfoIT_T1_EESF_NSC_IKS6_SE_EElS8_S8_SE_T6_
; %bb.0:
	s_load_dwordx4 s[16:19], s[4:5], 0x0
	v_mov_b32_e32 v1, 0
	s_add_u32 s22, s4, 0x508
	s_addc_u32 s23, s5, 0
                                        ; implicit-def: $sgpr7
	s_waitcnt lgkmcnt(0)
	v_cmp_gt_i64_e64 s[0:1], s[18:19], v[0:1]
	v_cmp_le_i64_e32 vcc, s[18:19], v[0:1]
	s_and_saveexec_b64 s[2:3], vcc
	s_xor_b64 s[2:3], exec, s[2:3]
	s_cbranch_execz .LBB38_2
; %bb.1:
	s_load_dword s7, s[22:23], 0xc
.LBB38_2:
	s_or_saveexec_b64 s[8:9], s[2:3]
	s_load_dwordx2 s[20:21], s[4:5], 0xd0
	s_waitcnt lgkmcnt(0)
	v_mov_b32_e32 v4, s7
	s_xor_b64 exec, exec, s[8:9]
	s_cbranch_execz .LBB38_16
; %bb.3:
	s_load_dword s7, s[22:23], 0xc
	v_mov_b32_e32 v2, s19
	s_mov_b32 s13, 0
	s_waitcnt lgkmcnt(0)
	s_and_b32 s12, s7, 0xffff
	v_add_co_u32_e32 v4, vcc, s12, v0
	v_addc_co_u32_e64 v5, s[2:3], 0, 0, vcc
	v_cmp_gt_i64_e32 vcc, s[18:19], v[4:5]
	v_cndmask_b32_e32 v6, v5, v2, vcc
	v_mov_b32_e32 v2, s18
	v_cndmask_b32_e32 v3, v4, v2, vcc
	v_cndmask_b32_e64 v2, 0, 1, vcc
	v_add_co_u32_e32 v4, vcc, v4, v2
	v_addc_co_u32_e32 v5, vcc, 0, v5, vcc
	v_sub_co_u32_e32 v3, vcc, v3, v4
	v_subb_co_u32_e32 v5, vcc, v6, v5, vcc
	v_mov_b32_e32 v4, 0
	v_cmp_ne_u64_e32 vcc, 0, v[4:5]
                                        ; implicit-def: $vgpr6_vgpr7
	s_and_saveexec_b64 s[2:3], vcc
	s_xor_b64 s[10:11], exec, s[2:3]
	s_cbranch_execz .LBB38_5
; %bb.4:
	v_cvt_f32_u32_e32 v4, s12
	v_mov_b32_e32 v6, 0x4f800000
	s_sub_u32 s2, 0, s12
	s_subb_u32 s3, 0, 0
	v_mac_f32_e32 v4, 0, v6
	v_rcp_f32_e32 v4, v4
	v_mul_f32_e32 v4, 0x5f7ffffc, v4
	v_mul_f32_e32 v6, 0x2f800000, v4
	v_trunc_f32_e32 v6, v6
	v_madmk_f32 v4, v6, 0xcf800000, v4
	v_cvt_u32_f32_e32 v6, v6
	v_cvt_u32_f32_e32 v4, v4
	v_mul_lo_u32 v7, s2, v6
	v_mul_hi_u32 v9, s2, v4
	v_mul_lo_u32 v8, s3, v4
	v_add_u32_e32 v7, v9, v7
	v_mul_lo_u32 v10, s2, v4
	v_add_u32_e32 v7, v7, v8
	v_mul_hi_u32 v9, v4, v10
	v_mul_lo_u32 v11, v4, v7
	v_mul_hi_u32 v8, v4, v7
	v_add_co_u32_e32 v9, vcc, v9, v11
	v_addc_co_u32_e32 v8, vcc, 0, v8, vcc
	v_mul_hi_u32 v12, v6, v10
	v_mul_lo_u32 v10, v6, v10
	v_add_co_u32_e32 v9, vcc, v9, v10
	v_mul_hi_u32 v11, v6, v7
	v_addc_co_u32_e32 v8, vcc, v8, v12, vcc
	v_addc_co_u32_e32 v9, vcc, 0, v11, vcc
	v_mul_lo_u32 v7, v6, v7
	v_add_co_u32_e32 v7, vcc, v8, v7
	v_addc_co_u32_e32 v8, vcc, 0, v9, vcc
	v_add_co_u32_e32 v4, vcc, v4, v7
	v_addc_co_u32_e32 v6, vcc, v6, v8, vcc
	v_mul_lo_u32 v7, s2, v6
	v_mul_hi_u32 v8, s2, v4
	v_add_u32_e32 v7, v8, v7
	v_mul_lo_u32 v8, s3, v4
	v_add_u32_e32 v7, v7, v8
	v_mul_lo_u32 v9, s2, v4
	v_mul_hi_u32 v10, v6, v9
	v_mul_lo_u32 v11, v6, v9
	v_mul_lo_u32 v13, v4, v7
	v_mul_hi_u32 v9, v4, v9
	v_mul_hi_u32 v12, v4, v7
	v_add_co_u32_e32 v9, vcc, v9, v13
	v_addc_co_u32_e32 v12, vcc, 0, v12, vcc
	v_add_co_u32_e32 v9, vcc, v9, v11
	v_mul_hi_u32 v8, v6, v7
	v_addc_co_u32_e32 v9, vcc, v12, v10, vcc
	v_addc_co_u32_e32 v8, vcc, 0, v8, vcc
	v_mul_lo_u32 v7, v6, v7
	v_add_co_u32_e32 v7, vcc, v9, v7
	v_addc_co_u32_e32 v8, vcc, 0, v8, vcc
	v_add_co_u32_e32 v4, vcc, v4, v7
	v_addc_co_u32_e32 v8, vcc, v6, v8, vcc
	v_mad_u64_u32 v[6:7], s[2:3], v3, v8, 0
	v_mul_hi_u32 v9, v3, v4
	v_add_co_u32_e32 v10, vcc, v9, v6
	v_addc_co_u32_e32 v11, vcc, 0, v7, vcc
	v_mad_u64_u32 v[6:7], s[2:3], v5, v8, 0
	v_mad_u64_u32 v[8:9], s[2:3], v5, v4, 0
	v_add_co_u32_e32 v4, vcc, v10, v8
	v_addc_co_u32_e32 v4, vcc, v11, v9, vcc
	v_addc_co_u32_e32 v7, vcc, 0, v7, vcc
	v_add_co_u32_e32 v10, vcc, v4, v6
	v_addc_co_u32_e32 v11, vcc, 0, v7, vcc
	v_mad_u64_u32 v[6:7], s[2:3], s12, v10, 0
	v_mov_b32_e32 v4, v7
	v_mad_u64_u32 v[8:9], s[2:3], s12, v11, v[4:5]
	v_sub_co_u32_e32 v3, vcc, v3, v6
	v_subb_co_u32_e32 v4, vcc, v5, v8, vcc
	v_subrev_co_u32_e32 v5, vcc, s12, v3
	v_subbrev_co_u32_e32 v6, vcc, 0, v4, vcc
	v_cmp_le_u32_e32 vcc, s12, v5
	v_cndmask_b32_e64 v5, 0, -1, vcc
	v_cmp_eq_u32_e32 vcc, 0, v6
	v_cndmask_b32_e32 v5, -1, v5, vcc
	v_add_co_u32_e32 v6, vcc, 2, v10
	v_addc_co_u32_e32 v7, vcc, 0, v11, vcc
	v_add_co_u32_e32 v8, vcc, 1, v10
	v_cmp_le_u32_e64 s[2:3], s12, v3
	v_addc_co_u32_e32 v9, vcc, 0, v11, vcc
	v_cndmask_b32_e64 v3, 0, -1, s[2:3]
	v_cmp_eq_u32_e64 s[2:3], 0, v4
	v_cmp_ne_u32_e32 vcc, 0, v5
	v_cndmask_b32_e64 v3, -1, v3, s[2:3]
	v_cndmask_b32_e32 v5, v9, v7, vcc
	v_cmp_ne_u32_e64 s[2:3], 0, v3
	v_cndmask_b32_e32 v3, v8, v6, vcc
	v_cndmask_b32_e64 v7, v11, v5, s[2:3]
	v_cndmask_b32_e64 v6, v10, v3, s[2:3]
                                        ; implicit-def: $vgpr3
.LBB38_5:
	s_andn2_saveexec_b64 s[2:3], s[10:11]
	s_cbranch_execz .LBB38_7
; %bb.6:
	v_cvt_f32_u32_e32 v4, s12
	s_sub_i32 s10, 0, s12
	v_mov_b32_e32 v7, 0
	v_rcp_iflag_f32_e32 v4, v4
	v_mul_f32_e32 v4, 0x4f7ffffe, v4
	v_cvt_u32_f32_e32 v4, v4
	v_mul_lo_u32 v5, s10, v4
	v_mul_hi_u32 v5, v4, v5
	v_add_u32_e32 v4, v4, v5
	v_mul_hi_u32 v4, v3, v4
	v_mul_lo_u32 v5, v4, s12
	v_sub_u32_e32 v3, v3, v5
	v_add_u32_e32 v6, 1, v4
	v_subrev_u32_e32 v5, s12, v3
	v_cmp_le_u32_e32 vcc, s12, v3
	v_cndmask_b32_e32 v3, v3, v5, vcc
	v_cndmask_b32_e32 v4, v4, v6, vcc
	v_add_u32_e32 v5, 1, v4
	v_cmp_le_u32_e32 vcc, s12, v3
	v_cndmask_b32_e32 v6, v4, v5, vcc
.LBB38_7:
	s_or_b64 exec, exec, s[2:3]
	v_add_co_u32_e32 v2, vcc, v6, v2
	v_addc_co_u32_e32 v3, vcc, 0, v7, vcc
	v_add_co_u32_e32 v4, vcc, 1, v2
	v_addc_co_u32_e32 v5, vcc, 0, v3, vcc
	v_cmp_lt_u64_e32 vcc, 1, v[4:5]
	v_cmp_eq_u16_e64 s[2:3], s7, 1
	s_and_b64 s[24:25], vcc, s[2:3]
	s_mov_b64 s[10:11], -1
	v_pk_mov_b32 v[2:3], v[0:1], v[0:1] op_sel:[0,1]
                                        ; implicit-def: $sgpr14
	s_and_saveexec_b64 s[2:3], s[24:25]
	s_cbranch_execz .LBB38_11
; %bb.8:
	v_and_b32_e32 v6, -2, v4
	v_mov_b32_e32 v7, v5
	v_lshl_add_u32 v8, v0, 2, 0
	s_mov_b64 s[10:11], 0
	v_mov_b32_e32 v9, 0
	v_pk_mov_b32 v[2:3], v[6:7], v[6:7] op_sel:[0,1]
.LBB38_9:                               ; =>This Inner Loop Header: Depth=1
	v_add_co_u32_e32 v2, vcc, -2, v2
	v_addc_co_u32_e32 v3, vcc, -1, v3, vcc
	v_cmp_eq_u64_e32 vcc, 0, v[2:3]
	ds_write2_b32 v8, v9, v9 offset1:1
	s_or_b64 s[10:11], vcc, s[10:11]
	v_add_u32_e32 v8, 8, v8
	s_andn2_b64 exec, exec, s[10:11]
	s_cbranch_execnz .LBB38_9
; %bb.10:
	s_or_b64 exec, exec, s[10:11]
	v_mad_u64_u32 v[2:3], s[10:11], v6, s12, v[0:1]
	v_mov_b32_e32 v8, v3
	v_mad_u64_u32 v[8:9], s[10:11], v7, s12, v[8:9]
	v_cmp_ne_u64_e32 vcc, v[4:5], v[6:7]
	v_mov_b32_e32 v3, v8
	s_mov_b32 s14, 1
	s_orn2_b64 s[10:11], vcc, exec
.LBB38_11:
	s_or_b64 exec, exec, s[2:3]
	v_mov_b32_e32 v4, s14
	s_and_saveexec_b64 s[2:3], s[10:11]
	s_cbranch_execz .LBB38_15
; %bb.12:
	v_lshl_add_u32 v4, v2, 2, 0
	s_lshl_b32 s14, s12, 2
	s_mov_b64 s[10:11], 0
	v_mov_b32_e32 v5, 0
	v_mov_b32_e32 v6, s13
.LBB38_13:                              ; =>This Inner Loop Header: Depth=1
	v_add_co_u32_e32 v2, vcc, s12, v2
	v_addc_co_u32_e32 v3, vcc, v3, v6, vcc
	v_cmp_le_i64_e32 vcc, s[18:19], v[2:3]
	ds_write_b32 v4, v5
	s_or_b64 s[10:11], vcc, s[10:11]
	v_add_u32_e32 v4, s14, v4
	s_andn2_b64 exec, exec, s[10:11]
	s_cbranch_execnz .LBB38_13
; %bb.14:
	s_or_b64 exec, exec, s[10:11]
	v_mov_b32_e32 v4, s7
.LBB38_15:
	s_or_b64 exec, exec, s[2:3]
.LBB38_16:
	s_or_b64 exec, exec, s[8:9]
	s_load_dwordx8 s[8:15], s[4:5], 0x4e0
	v_and_b32_e32 v2, 0xffff, v4
	v_mad_u64_u32 v[4:5], s[2:3], s6, v2, v[0:1]
	v_mov_b32_e32 v6, 0
	v_mov_b32_e32 v5, v6
	s_waitcnt lgkmcnt(0)
	v_cmp_gt_i64_e32 vcc, s[14:15], v[4:5]
	s_barrier
	s_waitcnt lgkmcnt(0)
                                        ; kill: def $vgpr3 killed $sgpr0 killed $exec
	s_and_saveexec_b64 s[6:7], vcc
	s_cbranch_execz .LBB38_32
; %bb.17:
	s_load_dword s26, s[4:5], 0x4d8
	s_add_u32 s27, s4, 0x340
	s_addc_u32 s29, s5, 0
	s_load_dword s28, s[22:23], 0x0
	s_load_dwordx2 s[24:25], s[4:5], 0x340
	s_waitcnt lgkmcnt(0)
	v_mul_lo_u32 v8, s28, v2
	s_load_dwordx2 s[22:23], s[4:5], 0x410
	s_cmp_gt_i32 s26, 1
	s_cselect_b64 s[2:3], -1, 0
	s_sub_u32 s33, s12, s10
	s_subb_u32 s42, s13, s11
	s_mov_b32 s5, 0
	s_add_i32 s4, s26, -1
	s_add_i32 s43, s26, 1
	s_lshl_b64 s[4:5], s[4:5], 3
	s_add_u32 s4, s4, s27
	s_addc_u32 s5, s5, s29
	s_add_u32 s26, s4, 8
	v_cndmask_b32_e64 v3, 0, 1, s[2:3]
	s_addc_u32 s27, s5, 0
	s_mov_b64 s[28:29], 0
	v_cmp_ne_u32_e64 s[2:3], 1, v3
	v_mov_b32_e32 v3, 1.0
	s_branch .LBB38_20
.LBB38_18:                              ;   in Loop: Header=BB38_20 Depth=1
	s_or_b64 exec, exec, s[4:5]
	v_ashrrev_i32_e32 v13, 31, v12
	v_cmp_eq_u64_e32 vcc, s[8:9], v[12:13]
	v_subbrev_co_u32_e32 v7, vcc, 0, v12, vcc
	v_lshl_add_u32 v7, v7, 2, 0
	ds_add_f32 v7, v3
	s_waitcnt lgkmcnt(0)
.LBB38_19:                              ;   in Loop: Header=BB38_20 Depth=1
	s_or_b64 exec, exec, s[30:31]
	v_add_co_u32_e32 v4, vcc, v4, v8
	v_addc_co_u32_e32 v5, vcc, 0, v5, vcc
	v_cmp_le_i64_e32 vcc, s[14:15], v[4:5]
	s_or_b64 s[28:29], vcc, s[28:29]
	s_andn2_b64 exec, exec, s[28:29]
	s_cbranch_execz .LBB38_32
.LBB38_20:                              ; =>This Loop Header: Depth=1
                                        ;     Child Loop BB38_21 Depth 2
	s_and_b64 vcc, exec, s[2:3]
	v_pk_mov_b32 v[10:11], 0, 0
	s_mov_b64 s[30:31], s[26:27]
	s_mov_b32 s44, s43
	v_pk_mov_b32 v[12:13], v[4:5], v[4:5] op_sel:[0,1]
	v_pk_mov_b32 v[14:15], v[4:5], v[4:5] op_sel:[0,1]
	s_cbranch_vccnz .LBB38_27
.LBB38_21:                              ;   Parent Loop BB38_20 Depth=1
                                        ; =>  This Inner Loop Header: Depth=2
	s_load_dwordx2 s[34:35], s[30:31], 0x0
                                        ; implicit-def: $vgpr14_vgpr15
	s_waitcnt lgkmcnt(0)
	v_or_b32_e32 v7, s35, v13
	v_cmp_ne_u64_e32 vcc, 0, v[6:7]
	s_and_saveexec_b64 s[4:5], vcc
	s_xor_b64 s[36:37], exec, s[4:5]
	s_cbranch_execz .LBB38_23
; %bb.22:                               ;   in Loop: Header=BB38_21 Depth=2
	s_ashr_i32 s38, s35, 31
	s_add_u32 s4, s34, s38
	s_mov_b32 s39, s38
	s_addc_u32 s5, s35, s38
	s_xor_b64 s[40:41], s[4:5], s[38:39]
	v_cvt_f32_u32_e32 v7, s40
	v_cvt_f32_u32_e32 v9, s41
	s_sub_u32 s4, 0, s40
	s_subb_u32 s5, 0, s41
	v_mac_f32_e32 v7, 0x4f800000, v9
	v_rcp_f32_e32 v7, v7
	v_mul_f32_e32 v7, 0x5f7ffffc, v7
	v_mul_f32_e32 v9, 0x2f800000, v7
	v_trunc_f32_e32 v9, v9
	v_mac_f32_e32 v7, 0xcf800000, v9
	v_cvt_u32_f32_e32 v9, v9
	v_cvt_u32_f32_e32 v7, v7
	v_mul_lo_u32 v14, s4, v9
	v_mul_hi_u32 v16, s4, v7
	v_mul_lo_u32 v15, s5, v7
	v_add_u32_e32 v14, v16, v14
	v_mul_lo_u32 v17, s4, v7
	v_add_u32_e32 v14, v14, v15
	v_mul_lo_u32 v16, v7, v14
	v_mul_hi_u32 v18, v7, v17
	v_mul_hi_u32 v15, v7, v14
	v_add_co_u32_e32 v16, vcc, v18, v16
	v_addc_co_u32_e32 v15, vcc, 0, v15, vcc
	v_mul_hi_u32 v19, v9, v17
	v_mul_lo_u32 v17, v9, v17
	v_add_co_u32_e32 v16, vcc, v16, v17
	v_mul_hi_u32 v18, v9, v14
	v_addc_co_u32_e32 v15, vcc, v15, v19, vcc
	v_addc_co_u32_e32 v16, vcc, 0, v18, vcc
	v_mul_lo_u32 v14, v9, v14
	v_add_co_u32_e32 v14, vcc, v15, v14
	v_addc_co_u32_e32 v15, vcc, 0, v16, vcc
	v_add_co_u32_e32 v7, vcc, v7, v14
	v_addc_co_u32_e32 v9, vcc, v9, v15, vcc
	v_mul_lo_u32 v14, s4, v9
	v_mul_hi_u32 v15, s4, v7
	v_add_u32_e32 v14, v15, v14
	v_mul_lo_u32 v15, s5, v7
	v_add_u32_e32 v14, v14, v15
	v_mul_lo_u32 v16, s4, v7
	v_mul_hi_u32 v17, v9, v16
	v_mul_lo_u32 v18, v9, v16
	v_mul_lo_u32 v20, v7, v14
	v_mul_hi_u32 v16, v7, v16
	v_mul_hi_u32 v19, v7, v14
	v_add_co_u32_e32 v16, vcc, v16, v20
	v_addc_co_u32_e32 v19, vcc, 0, v19, vcc
	v_add_co_u32_e32 v16, vcc, v16, v18
	v_mul_hi_u32 v15, v9, v14
	v_addc_co_u32_e32 v16, vcc, v19, v17, vcc
	v_addc_co_u32_e32 v15, vcc, 0, v15, vcc
	v_mul_lo_u32 v14, v9, v14
	v_add_co_u32_e32 v14, vcc, v16, v14
	v_addc_co_u32_e32 v15, vcc, 0, v15, vcc
	v_add_co_u32_e32 v7, vcc, v7, v14
	v_addc_co_u32_e32 v9, vcc, v9, v15, vcc
	v_ashrrev_i32_e32 v18, 31, v13
	v_add_co_u32_e32 v14, vcc, v12, v18
	v_addc_co_u32_e32 v15, vcc, v13, v18, vcc
	v_xor_b32_e32 v20, v14, v18
	v_xor_b32_e32 v19, v15, v18
	v_mad_u64_u32 v[14:15], s[4:5], v20, v9, 0
	v_mul_hi_u32 v16, v20, v7
	v_add_co_u32_e32 v21, vcc, v16, v14
	v_addc_co_u32_e32 v22, vcc, 0, v15, vcc
	v_mad_u64_u32 v[16:17], s[4:5], v19, v7, 0
	v_add_co_u32_e32 v7, vcc, v21, v16
	v_mad_u64_u32 v[14:15], s[4:5], v19, v9, 0
	v_addc_co_u32_e32 v7, vcc, v22, v17, vcc
	v_addc_co_u32_e32 v9, vcc, 0, v15, vcc
	v_add_co_u32_e32 v7, vcc, v7, v14
	v_addc_co_u32_e32 v9, vcc, 0, v9, vcc
	v_mul_lo_u32 v16, s41, v7
	v_mul_lo_u32 v17, s40, v9
	v_mad_u64_u32 v[14:15], s[4:5], s40, v7, 0
	v_add3_u32 v15, v15, v17, v16
	v_sub_u32_e32 v16, v19, v15
	v_mov_b32_e32 v17, s41
	v_sub_co_u32_e32 v14, vcc, v20, v14
	v_subb_co_u32_e64 v16, s[4:5], v16, v17, vcc
	v_subrev_co_u32_e64 v17, s[4:5], s40, v14
	v_subbrev_co_u32_e64 v16, s[4:5], 0, v16, s[4:5]
	v_cmp_le_u32_e64 s[4:5], s41, v16
	v_cndmask_b32_e64 v20, 0, -1, s[4:5]
	v_cmp_le_u32_e64 s[4:5], s40, v17
	v_cndmask_b32_e64 v17, 0, -1, s[4:5]
	v_cmp_eq_u32_e64 s[4:5], s41, v16
	v_cndmask_b32_e64 v16, v20, v17, s[4:5]
	v_add_co_u32_e64 v17, s[4:5], 2, v7
	v_subb_co_u32_e32 v15, vcc, v19, v15, vcc
	v_addc_co_u32_e64 v20, s[4:5], 0, v9, s[4:5]
	v_cmp_le_u32_e32 vcc, s41, v15
	v_add_co_u32_e64 v21, s[4:5], 1, v7
	v_cndmask_b32_e64 v19, 0, -1, vcc
	v_cmp_le_u32_e32 vcc, s40, v14
	v_addc_co_u32_e64 v22, s[4:5], 0, v9, s[4:5]
	v_cndmask_b32_e64 v14, 0, -1, vcc
	v_cmp_eq_u32_e32 vcc, s41, v15
	v_cmp_ne_u32_e64 s[4:5], 0, v16
	v_cndmask_b32_e32 v14, v19, v14, vcc
	v_cmp_ne_u32_e32 vcc, 0, v14
	v_cndmask_b32_e64 v14, v21, v17, s[4:5]
	v_cndmask_b32_e64 v16, v22, v20, s[4:5]
	v_cndmask_b32_e32 v7, v7, v14, vcc
	v_xor_b32_e32 v15, s38, v18
	v_cndmask_b32_e32 v9, v9, v16, vcc
	v_xor_b32_e32 v7, v7, v15
	v_xor_b32_e32 v9, v9, v15
	v_sub_co_u32_e32 v14, vcc, v7, v15
	v_subb_co_u32_e32 v15, vcc, v9, v15, vcc
.LBB38_23:                              ;   in Loop: Header=BB38_21 Depth=2
	s_andn2_saveexec_b64 s[4:5], s[36:37]
	s_cbranch_execz .LBB38_25
; %bb.24:                               ;   in Loop: Header=BB38_21 Depth=2
	v_cvt_f32_u32_e32 v7, s34
	s_sub_i32 s36, 0, s34
	v_rcp_iflag_f32_e32 v7, v7
	v_mul_f32_e32 v7, 0x4f7ffffe, v7
	v_cvt_u32_f32_e32 v7, v7
	v_mul_lo_u32 v9, s36, v7
	v_mul_hi_u32 v9, v7, v9
	v_add_u32_e32 v7, v7, v9
	v_mul_hi_u32 v7, v12, v7
	v_mul_lo_u32 v9, v7, s34
	v_sub_u32_e32 v9, v12, v9
	v_add_u32_e32 v14, 1, v7
	v_subrev_u32_e32 v15, s34, v9
	v_cmp_le_u32_e32 vcc, s34, v9
	v_cndmask_b32_e32 v9, v9, v15, vcc
	v_cndmask_b32_e32 v7, v7, v14, vcc
	v_add_u32_e32 v14, 1, v7
	v_cmp_le_u32_e32 vcc, s34, v9
	v_cndmask_b32_e32 v14, v7, v14, vcc
	v_mov_b32_e32 v15, v6
.LBB38_25:                              ;   in Loop: Header=BB38_21 Depth=2
	s_or_b64 exec, exec, s[4:5]
	v_mad_u64_u32 v[16:17], s[4:5], v14, s34, 0
	s_load_dwordx2 s[4:5], s[30:31], 0xc8
	v_mul_lo_u32 v7, v15, s34
	v_mul_lo_u32 v9, v14, s35
	v_add3_u32 v7, v17, v9, v7
	v_sub_co_u32_e32 v9, vcc, v12, v16
	s_add_i32 s44, s44, -1
	v_subb_co_u32_e32 v7, vcc, v13, v7, vcc
	s_add_u32 s30, s30, -8
	s_waitcnt lgkmcnt(0)
	v_mul_lo_u32 v7, s4, v7
	v_mul_lo_u32 v12, s5, v9
	v_mad_u64_u32 v[10:11], s[4:5], s4, v9, v[10:11]
	s_addc_u32 s31, s31, -1
	s_cmp_gt_u32 s44, 2
	v_add3_u32 v11, v12, v11, v7
	s_cbranch_scc0 .LBB38_27
; %bb.26:                               ;   in Loop: Header=BB38_21 Depth=2
	v_pk_mov_b32 v[12:13], v[14:15], v[14:15] op_sel:[0,1]
	s_branch .LBB38_21
.LBB38_27:                              ;   in Loop: Header=BB38_20 Depth=1
	s_waitcnt lgkmcnt(0)
	v_mul_lo_u32 v7, s23, v14
	v_mul_lo_u32 v9, s22, v15
	v_mad_u64_u32 v[12:13], s[4:5], s22, v14, 0
	v_add3_u32 v13, v13, v9, v7
	v_lshlrev_b64 v[12:13], 3, v[12:13]
	v_mov_b32_e32 v7, s25
	v_add_co_u32_e32 v9, vcc, s24, v12
	v_addc_co_u32_e32 v7, vcc, v7, v13, vcc
	v_lshlrev_b64 v[10:11], 3, v[10:11]
	v_add_co_u32_e32 v10, vcc, v9, v10
	v_addc_co_u32_e32 v11, vcc, v7, v11, vcc
	global_load_dwordx2 v[10:11], v[10:11], off
	s_waitcnt vmcnt(0)
	v_cmp_le_i64_e32 vcc, s[10:11], v[10:11]
	v_cmp_ge_i64_e64 s[4:5], s[12:13], v[10:11]
	s_and_b64 s[4:5], vcc, s[4:5]
	s_and_saveexec_b64 s[30:31], s[4:5]
	s_cbranch_execz .LBB38_19
; %bb.28:                               ;   in Loop: Header=BB38_20 Depth=1
	v_mov_b32_e32 v7, s11
	v_subrev_co_u32_e32 v9, vcc, s10, v10
	v_subb_co_u32_e32 v7, vcc, v11, v7, vcc
	v_mul_lo_u32 v7, v7, s8
	v_mul_lo_u32 v12, v9, s9
	v_mad_u64_u32 v[10:11], s[4:5], v9, s8, 0
	v_add3_u32 v11, v11, v12, v7
	v_or_b32_e32 v7, s42, v11
	v_cmp_ne_u64_e32 vcc, 0, v[6:7]
                                        ; implicit-def: $vgpr12_vgpr13
	s_and_saveexec_b64 s[4:5], vcc
	s_xor_b64 s[34:35], exec, s[4:5]
	s_cbranch_execz .LBB38_30
; %bb.29:                               ;   in Loop: Header=BB38_20 Depth=1
	s_ashr_i32 s36, s42, 31
	s_add_u32 s4, s33, s36
	s_mov_b32 s37, s36
	s_addc_u32 s5, s42, s36
	s_xor_b64 s[38:39], s[4:5], s[36:37]
	v_cvt_f32_u32_e32 v7, s38
	v_cvt_f32_u32_e32 v9, s39
	s_sub_u32 s4, 0, s38
	s_subb_u32 s5, 0, s39
	v_mac_f32_e32 v7, 0x4f800000, v9
	v_rcp_f32_e32 v7, v7
	v_mul_f32_e32 v7, 0x5f7ffffc, v7
	v_mul_f32_e32 v9, 0x2f800000, v7
	v_trunc_f32_e32 v9, v9
	v_mac_f32_e32 v7, 0xcf800000, v9
	v_cvt_u32_f32_e32 v9, v9
	v_cvt_u32_f32_e32 v7, v7
	v_mul_lo_u32 v12, s4, v9
	v_mul_hi_u32 v14, s4, v7
	v_mul_lo_u32 v13, s5, v7
	v_add_u32_e32 v12, v14, v12
	v_mul_lo_u32 v15, s4, v7
	v_add_u32_e32 v12, v12, v13
	v_mul_lo_u32 v14, v7, v12
	v_mul_hi_u32 v16, v7, v15
	v_mul_hi_u32 v13, v7, v12
	v_add_co_u32_e32 v14, vcc, v16, v14
	v_addc_co_u32_e32 v13, vcc, 0, v13, vcc
	v_mul_hi_u32 v17, v9, v15
	v_mul_lo_u32 v15, v9, v15
	v_add_co_u32_e32 v14, vcc, v14, v15
	v_mul_hi_u32 v16, v9, v12
	v_addc_co_u32_e32 v13, vcc, v13, v17, vcc
	v_addc_co_u32_e32 v14, vcc, 0, v16, vcc
	v_mul_lo_u32 v12, v9, v12
	v_add_co_u32_e32 v12, vcc, v13, v12
	v_addc_co_u32_e32 v13, vcc, 0, v14, vcc
	v_add_co_u32_e32 v7, vcc, v7, v12
	v_addc_co_u32_e32 v9, vcc, v9, v13, vcc
	v_mul_lo_u32 v12, s4, v9
	v_mul_hi_u32 v13, s4, v7
	v_add_u32_e32 v12, v13, v12
	v_mul_lo_u32 v13, s5, v7
	v_add_u32_e32 v12, v12, v13
	v_mul_lo_u32 v14, s4, v7
	v_mul_hi_u32 v15, v9, v14
	v_mul_lo_u32 v16, v9, v14
	v_mul_lo_u32 v18, v7, v12
	v_mul_hi_u32 v14, v7, v14
	v_mul_hi_u32 v17, v7, v12
	v_add_co_u32_e32 v14, vcc, v14, v18
	v_addc_co_u32_e32 v17, vcc, 0, v17, vcc
	v_add_co_u32_e32 v14, vcc, v14, v16
	v_mul_hi_u32 v13, v9, v12
	v_addc_co_u32_e32 v14, vcc, v17, v15, vcc
	v_addc_co_u32_e32 v13, vcc, 0, v13, vcc
	v_mul_lo_u32 v12, v9, v12
	v_add_co_u32_e32 v12, vcc, v14, v12
	v_addc_co_u32_e32 v13, vcc, 0, v13, vcc
	v_add_co_u32_e32 v7, vcc, v7, v12
	v_addc_co_u32_e32 v9, vcc, v9, v13, vcc
	v_ashrrev_i32_e32 v14, 31, v11
	v_add_co_u32_e32 v10, vcc, v10, v14
	v_addc_co_u32_e32 v11, vcc, v11, v14, vcc
	v_xor_b32_e32 v16, v10, v14
	v_xor_b32_e32 v15, v11, v14
	v_mad_u64_u32 v[10:11], s[4:5], v16, v9, 0
	v_mul_hi_u32 v12, v16, v7
	v_add_co_u32_e32 v17, vcc, v12, v10
	v_addc_co_u32_e32 v18, vcc, 0, v11, vcc
	v_mad_u64_u32 v[12:13], s[4:5], v15, v7, 0
	v_add_co_u32_e32 v7, vcc, v17, v12
	v_mad_u64_u32 v[10:11], s[4:5], v15, v9, 0
	v_addc_co_u32_e32 v7, vcc, v18, v13, vcc
	v_addc_co_u32_e32 v9, vcc, 0, v11, vcc
	v_add_co_u32_e32 v7, vcc, v7, v10
	v_addc_co_u32_e32 v9, vcc, 0, v9, vcc
	v_mul_lo_u32 v12, s39, v7
	v_mul_lo_u32 v9, s38, v9
	v_mad_u64_u32 v[10:11], s[4:5], s38, v7, 0
	v_add3_u32 v9, v11, v9, v12
	v_sub_u32_e32 v11, v15, v9
	v_mov_b32_e32 v12, s39
	v_sub_co_u32_e32 v10, vcc, v16, v10
	v_subb_co_u32_e64 v11, s[4:5], v11, v12, vcc
	v_subrev_co_u32_e64 v12, s[4:5], s38, v10
	v_subbrev_co_u32_e64 v11, s[4:5], 0, v11, s[4:5]
	v_cmp_le_u32_e64 s[4:5], s39, v11
	v_subb_co_u32_e32 v9, vcc, v15, v9, vcc
	v_cndmask_b32_e64 v13, 0, -1, s[4:5]
	v_cmp_le_u32_e64 s[4:5], s38, v12
	v_cmp_le_u32_e32 vcc, s39, v9
	v_cndmask_b32_e64 v12, 0, -1, s[4:5]
	v_cmp_eq_u32_e64 s[4:5], s39, v11
	v_cndmask_b32_e64 v15, 0, -1, vcc
	v_cmp_le_u32_e32 vcc, s38, v10
	v_cndmask_b32_e64 v11, v13, v12, s[4:5]
	v_cndmask_b32_e64 v10, 0, -1, vcc
	v_cmp_eq_u32_e32 vcc, s39, v9
	v_add_co_u32_e64 v12, s[4:5], 2, v7
	v_add_co_u32_e64 v13, s[4:5], 1, v7
	v_cndmask_b32_e32 v9, v15, v10, vcc
	v_cmp_ne_u32_e32 vcc, 0, v11
	v_cndmask_b32_e32 v10, v13, v12, vcc
	v_cmp_ne_u32_e32 vcc, 0, v9
	v_cndmask_b32_e32 v7, v7, v10, vcc
	v_xor_b32_e32 v9, s36, v14
	v_xor_b32_e32 v7, v7, v9
	v_sub_co_u32_e32 v12, vcc, v7, v9
                                        ; implicit-def: $vgpr10_vgpr11
.LBB38_30:                              ;   in Loop: Header=BB38_20 Depth=1
	s_andn2_saveexec_b64 s[4:5], s[34:35]
	s_cbranch_execz .LBB38_18
; %bb.31:                               ;   in Loop: Header=BB38_20 Depth=1
	v_cvt_f32_u32_e32 v7, s33
	s_sub_i32 s34, 0, s33
	v_rcp_iflag_f32_e32 v7, v7
	v_mul_f32_e32 v7, 0x4f7ffffe, v7
	v_cvt_u32_f32_e32 v7, v7
	v_mul_lo_u32 v9, s34, v7
	v_mul_hi_u32 v9, v7, v9
	v_add_u32_e32 v7, v7, v9
	v_mul_hi_u32 v7, v10, v7
	v_mul_lo_u32 v9, v7, s33
	v_sub_u32_e32 v9, v10, v9
	v_add_u32_e32 v11, 1, v7
	v_subrev_u32_e32 v10, s33, v9
	v_cmp_le_u32_e32 vcc, s33, v9
	v_cndmask_b32_e32 v9, v9, v10, vcc
	v_cndmask_b32_e32 v7, v7, v11, vcc
	v_add_u32_e32 v10, 1, v7
	v_cmp_le_u32_e32 vcc, s33, v9
	v_cndmask_b32_e32 v12, v7, v10, vcc
	s_branch .LBB38_18
.LBB38_32:
	s_or_b64 exec, exec, s[6:7]
; %bb.33:
	s_barrier
	s_and_saveexec_b64 s[2:3], s[0:1]
	s_cbranch_execz .LBB38_36
; %bb.34:
	v_mad_u64_u32 v[4:5], s[0:1], s20, v0, 0
	v_mov_b32_e32 v6, v5
	v_mad_u64_u32 v[6:7], s[0:1], s21, v0, v[6:7]
	v_mov_b32_e32 v5, v6
	v_mad_u64_u32 v[6:7], s[0:1], s20, v2, 0
	v_mov_b32_e32 v8, v7
	v_lshlrev_b64 v[4:5], 2, v[4:5]
	v_mad_u64_u32 v[8:9], s[0:1], s21, v2, v[8:9]
	v_mov_b32_e32 v3, s17
	v_add_co_u32_e32 v4, vcc, s16, v4
	v_mov_b32_e32 v7, v8
	v_addc_co_u32_e32 v5, vcc, v3, v5, vcc
	v_lshlrev_b64 v[6:7], 2, v[6:7]
	v_lshl_add_u32 v3, v0, 2, 0
	v_lshlrev_b32_e32 v8, 2, v2
	s_mov_b64 s[0:1], 0
.LBB38_35:                              ; =>This Inner Loop Header: Depth=1
	ds_read_b32 v9, v3
	v_add_co_u32_e32 v0, vcc, v0, v2
	v_addc_co_u32_e32 v1, vcc, 0, v1, vcc
	s_waitcnt lgkmcnt(0)
	global_atomic_add_f32 v[4:5], v9, off
	v_cmp_le_i64_e32 vcc, s[18:19], v[0:1]
	s_or_b64 s[0:1], vcc, s[0:1]
	v_add_co_u32_e32 v4, vcc, v4, v6
	v_add_u32_e32 v3, v3, v8
	v_addc_co_u32_e32 v5, vcc, v5, v7, vcc
	s_andn2_b64 exec, exec, s[0:1]
	s_cbranch_execnz .LBB38_35
.LBB38_36:
	s_endpgm
	.section	.rodata,"a",@progbits
	.p2align	6, 0x0
	.amdhsa_kernel _ZN2at4cuda17kernelHistogram1DIfllLi1ELi2ELin1ELNS0_23CUDAHistogramMemoryTypeE0EZNS0_21CUDA_tensor_histogramIflLb1EEEbNS_6TensorES4_S4_lNS_14AccumulateTypeIT0_Lb1EE4typeES8_NS0_13TensorArgTypeES9_S9_EUllE0_EEvNS0_6detail10TensorInfoIT_T1_EESF_NSC_IKS6_SE_EElS8_S8_SE_T6_
		.amdhsa_group_segment_fixed_size 0
		.amdhsa_private_segment_fixed_size 0
		.amdhsa_kernarg_size 1544
		.amdhsa_user_sgpr_count 6
		.amdhsa_user_sgpr_private_segment_buffer 1
		.amdhsa_user_sgpr_dispatch_ptr 0
		.amdhsa_user_sgpr_queue_ptr 0
		.amdhsa_user_sgpr_kernarg_segment_ptr 1
		.amdhsa_user_sgpr_dispatch_id 0
		.amdhsa_user_sgpr_flat_scratch_init 0
		.amdhsa_user_sgpr_kernarg_preload_length 0
		.amdhsa_user_sgpr_kernarg_preload_offset 0
		.amdhsa_user_sgpr_private_segment_size 0
		.amdhsa_uses_dynamic_stack 0
		.amdhsa_system_sgpr_private_segment_wavefront_offset 0
		.amdhsa_system_sgpr_workgroup_id_x 1
		.amdhsa_system_sgpr_workgroup_id_y 0
		.amdhsa_system_sgpr_workgroup_id_z 0
		.amdhsa_system_sgpr_workgroup_info 0
		.amdhsa_system_vgpr_workitem_id 0
		.amdhsa_next_free_vgpr 23
		.amdhsa_next_free_sgpr 45
		.amdhsa_accum_offset 24
		.amdhsa_reserve_vcc 1
		.amdhsa_reserve_flat_scratch 0
		.amdhsa_float_round_mode_32 0
		.amdhsa_float_round_mode_16_64 0
		.amdhsa_float_denorm_mode_32 3
		.amdhsa_float_denorm_mode_16_64 3
		.amdhsa_dx10_clamp 1
		.amdhsa_ieee_mode 1
		.amdhsa_fp16_overflow 0
		.amdhsa_tg_split 0
		.amdhsa_exception_fp_ieee_invalid_op 0
		.amdhsa_exception_fp_denorm_src 0
		.amdhsa_exception_fp_ieee_div_zero 0
		.amdhsa_exception_fp_ieee_overflow 0
		.amdhsa_exception_fp_ieee_underflow 0
		.amdhsa_exception_fp_ieee_inexact 0
		.amdhsa_exception_int_div_zero 0
	.end_amdhsa_kernel
	.section	.text._ZN2at4cuda17kernelHistogram1DIfllLi1ELi2ELin1ELNS0_23CUDAHistogramMemoryTypeE0EZNS0_21CUDA_tensor_histogramIflLb1EEEbNS_6TensorES4_S4_lNS_14AccumulateTypeIT0_Lb1EE4typeES8_NS0_13TensorArgTypeES9_S9_EUllE0_EEvNS0_6detail10TensorInfoIT_T1_EESF_NSC_IKS6_SE_EElS8_S8_SE_T6_,"axG",@progbits,_ZN2at4cuda17kernelHistogram1DIfllLi1ELi2ELin1ELNS0_23CUDAHistogramMemoryTypeE0EZNS0_21CUDA_tensor_histogramIflLb1EEEbNS_6TensorES4_S4_lNS_14AccumulateTypeIT0_Lb1EE4typeES8_NS0_13TensorArgTypeES9_S9_EUllE0_EEvNS0_6detail10TensorInfoIT_T1_EESF_NSC_IKS6_SE_EElS8_S8_SE_T6_,comdat
.Lfunc_end38:
	.size	_ZN2at4cuda17kernelHistogram1DIfllLi1ELi2ELin1ELNS0_23CUDAHistogramMemoryTypeE0EZNS0_21CUDA_tensor_histogramIflLb1EEEbNS_6TensorES4_S4_lNS_14AccumulateTypeIT0_Lb1EE4typeES8_NS0_13TensorArgTypeES9_S9_EUllE0_EEvNS0_6detail10TensorInfoIT_T1_EESF_NSC_IKS6_SE_EElS8_S8_SE_T6_, .Lfunc_end38-_ZN2at4cuda17kernelHistogram1DIfllLi1ELi2ELin1ELNS0_23CUDAHistogramMemoryTypeE0EZNS0_21CUDA_tensor_histogramIflLb1EEEbNS_6TensorES4_S4_lNS_14AccumulateTypeIT0_Lb1EE4typeES8_NS0_13TensorArgTypeES9_S9_EUllE0_EEvNS0_6detail10TensorInfoIT_T1_EESF_NSC_IKS6_SE_EElS8_S8_SE_T6_
                                        ; -- End function
	.section	.AMDGPU.csdata,"",@progbits
; Kernel info:
; codeLenInByte = 3376
; NumSgprs: 49
; NumVgprs: 23
; NumAgprs: 0
; TotalNumVgprs: 23
; ScratchSize: 0
; MemoryBound: 0
; FloatMode: 240
; IeeeMode: 1
; LDSByteSize: 0 bytes/workgroup (compile time only)
; SGPRBlocks: 6
; VGPRBlocks: 2
; NumSGPRsForWavesPerEU: 49
; NumVGPRsForWavesPerEU: 23
; AccumOffset: 24
; Occupancy: 8
; WaveLimiterHint : 1
; COMPUTE_PGM_RSRC2:SCRATCH_EN: 0
; COMPUTE_PGM_RSRC2:USER_SGPR: 6
; COMPUTE_PGM_RSRC2:TRAP_HANDLER: 0
; COMPUTE_PGM_RSRC2:TGID_X_EN: 1
; COMPUTE_PGM_RSRC2:TGID_Y_EN: 0
; COMPUTE_PGM_RSRC2:TGID_Z_EN: 0
; COMPUTE_PGM_RSRC2:TIDIG_COMP_CNT: 0
; COMPUTE_PGM_RSRC3_GFX90A:ACCUM_OFFSET: 5
; COMPUTE_PGM_RSRC3_GFX90A:TG_SPLIT: 0
	.section	.text._ZN2at4cuda17kernelHistogram1DIfllLi1ELi2ELin1ELNS0_23CUDAHistogramMemoryTypeE1EZNS0_21CUDA_tensor_histogramIflLb1EEEbNS_6TensorES4_S4_lNS_14AccumulateTypeIT0_Lb1EE4typeES8_NS0_13TensorArgTypeES9_S9_EUllE0_EEvNS0_6detail10TensorInfoIT_T1_EESF_NSC_IKS6_SE_EElS8_S8_SE_T6_,"axG",@progbits,_ZN2at4cuda17kernelHistogram1DIfllLi1ELi2ELin1ELNS0_23CUDAHistogramMemoryTypeE1EZNS0_21CUDA_tensor_histogramIflLb1EEEbNS_6TensorES4_S4_lNS_14AccumulateTypeIT0_Lb1EE4typeES8_NS0_13TensorArgTypeES9_S9_EUllE0_EEvNS0_6detail10TensorInfoIT_T1_EESF_NSC_IKS6_SE_EElS8_S8_SE_T6_,comdat
	.protected	_ZN2at4cuda17kernelHistogram1DIfllLi1ELi2ELin1ELNS0_23CUDAHistogramMemoryTypeE1EZNS0_21CUDA_tensor_histogramIflLb1EEEbNS_6TensorES4_S4_lNS_14AccumulateTypeIT0_Lb1EE4typeES8_NS0_13TensorArgTypeES9_S9_EUllE0_EEvNS0_6detail10TensorInfoIT_T1_EESF_NSC_IKS6_SE_EElS8_S8_SE_T6_ ; -- Begin function _ZN2at4cuda17kernelHistogram1DIfllLi1ELi2ELin1ELNS0_23CUDAHistogramMemoryTypeE1EZNS0_21CUDA_tensor_histogramIflLb1EEEbNS_6TensorES4_S4_lNS_14AccumulateTypeIT0_Lb1EE4typeES8_NS0_13TensorArgTypeES9_S9_EUllE0_EEvNS0_6detail10TensorInfoIT_T1_EESF_NSC_IKS6_SE_EElS8_S8_SE_T6_
	.globl	_ZN2at4cuda17kernelHistogram1DIfllLi1ELi2ELin1ELNS0_23CUDAHistogramMemoryTypeE1EZNS0_21CUDA_tensor_histogramIflLb1EEEbNS_6TensorES4_S4_lNS_14AccumulateTypeIT0_Lb1EE4typeES8_NS0_13TensorArgTypeES9_S9_EUllE0_EEvNS0_6detail10TensorInfoIT_T1_EESF_NSC_IKS6_SE_EElS8_S8_SE_T6_
	.p2align	8
	.type	_ZN2at4cuda17kernelHistogram1DIfllLi1ELi2ELin1ELNS0_23CUDAHistogramMemoryTypeE1EZNS0_21CUDA_tensor_histogramIflLb1EEEbNS_6TensorES4_S4_lNS_14AccumulateTypeIT0_Lb1EE4typeES8_NS0_13TensorArgTypeES9_S9_EUllE0_EEvNS0_6detail10TensorInfoIT_T1_EESF_NSC_IKS6_SE_EElS8_S8_SE_T6_,@function
_ZN2at4cuda17kernelHistogram1DIfllLi1ELi2ELin1ELNS0_23CUDAHistogramMemoryTypeE1EZNS0_21CUDA_tensor_histogramIflLb1EEEbNS_6TensorES4_S4_lNS_14AccumulateTypeIT0_Lb1EE4typeES8_NS0_13TensorArgTypeES9_S9_EUllE0_EEvNS0_6detail10TensorInfoIT_T1_EESF_NSC_IKS6_SE_EElS8_S8_SE_T6_: ; @_ZN2at4cuda17kernelHistogram1DIfllLi1ELi2ELin1ELNS0_23CUDAHistogramMemoryTypeE1EZNS0_21CUDA_tensor_histogramIflLb1EEEbNS_6TensorES4_S4_lNS_14AccumulateTypeIT0_Lb1EE4typeES8_NS0_13TensorArgTypeES9_S9_EUllE0_EEvNS0_6detail10TensorInfoIT_T1_EESF_NSC_IKS6_SE_EElS8_S8_SE_T6_
; %bb.0:
	s_load_dword s2, s[4:5], 0x514
	s_load_dwordx8 s[8:15], s[4:5], 0x4e0
	s_add_u32 s0, s4, 0x508
	s_addc_u32 s1, s5, 0
	v_mov_b32_e32 v2, 0
	s_waitcnt lgkmcnt(0)
	s_and_b32 s2, s2, 0xffff
	s_mul_i32 s6, s6, s2
	v_add_u32_e32 v0, s6, v0
	v_mov_b32_e32 v1, v2
	v_cmp_gt_i64_e32 vcc, s[14:15], v[0:1]
	s_and_saveexec_b64 s[6:7], vcc
	s_cbranch_execz .LBB39_16
; %bb.1:
	s_load_dword s3, s[4:5], 0x4d8
	s_load_dwordx2 s[6:7], s[4:5], 0x0
	s_load_dwordx2 s[16:17], s[4:5], 0xd0
	s_load_dword s24, s[0:1], 0x0
	s_add_u32 s22, s4, 0x340
	s_addc_u32 s23, s5, 0
	s_mov_b32 s38, 0
	s_waitcnt lgkmcnt(0)
	s_cmp_gt_i32 s3, 1
	s_cselect_b64 s[0:1], -1, 0
	s_sub_u32 s33, s12, s10
	s_subb_u32 s36, s13, s11
	s_mul_i32 s37, s24, s2
	s_add_i32 s39, s3, 1
	s_add_i32 s2, s3, -1
	s_mov_b32 s3, s38
	s_load_dwordx2 s[18:19], s[4:5], 0x410
	s_load_dwordx2 s[20:21], s[4:5], 0x340
	s_lshl_b64 s[2:3], s[2:3], 3
	s_add_u32 s2, s2, s22
	s_addc_u32 s3, s3, s23
	s_add_u32 s4, s2, 8
	v_cndmask_b32_e64 v3, 0, 1, s[0:1]
	s_addc_u32 s5, s3, 0
	s_mov_b64 s[22:23], 0
	v_cmp_ne_u32_e64 s[0:1], 1, v3
	v_mov_b32_e32 v10, 1.0
	s_branch .LBB39_4
.LBB39_2:                               ;   in Loop: Header=BB39_4 Depth=1
	s_or_b64 exec, exec, s[2:3]
	v_ashrrev_i32_e32 v7, 31, v6
	v_cmp_eq_u64_e32 vcc, s[8:9], v[6:7]
	v_cndmask_b32_e64 v3, 0, 1, vcc
	v_sub_co_u32_e32 v3, vcc, v6, v3
	v_subbrev_co_u32_e32 v4, vcc, 0, v7, vcc
	v_mul_lo_u32 v6, v4, s16
	v_mul_lo_u32 v7, v3, s17
	v_mad_u64_u32 v[4:5], s[2:3], v3, s16, 0
	v_add3_u32 v5, v5, v7, v6
	v_lshlrev_b64 v[4:5], 2, v[4:5]
	v_mov_b32_e32 v3, s7
	v_add_co_u32_e32 v4, vcc, s6, v4
	v_addc_co_u32_e32 v5, vcc, v3, v5, vcc
	global_atomic_add_f32 v[4:5], v10, off
.LBB39_3:                               ;   in Loop: Header=BB39_4 Depth=1
	s_or_b64 exec, exec, s[24:25]
	v_mov_b32_e32 v3, s38
	v_add_co_u32_e32 v0, vcc, s37, v0
	v_addc_co_u32_e32 v1, vcc, v1, v3, vcc
	v_cmp_le_i64_e32 vcc, s[14:15], v[0:1]
	s_or_b64 s[22:23], vcc, s[22:23]
	s_andn2_b64 exec, exec, s[22:23]
	s_cbranch_execz .LBB39_16
.LBB39_4:                               ; =>This Loop Header: Depth=1
                                        ;     Child Loop BB39_5 Depth 2
	s_and_b64 vcc, exec, s[0:1]
	v_pk_mov_b32 v[4:5], 0, 0
	s_mov_b64 s[24:25], s[4:5]
	s_mov_b32 s40, s39
	v_pk_mov_b32 v[6:7], v[0:1], v[0:1] op_sel:[0,1]
	v_pk_mov_b32 v[8:9], v[0:1], v[0:1] op_sel:[0,1]
	s_cbranch_vccnz .LBB39_11
.LBB39_5:                               ;   Parent Loop BB39_4 Depth=1
                                        ; =>  This Inner Loop Header: Depth=2
	s_load_dwordx2 s[26:27], s[24:25], 0x0
                                        ; implicit-def: $vgpr8_vgpr9
	s_waitcnt lgkmcnt(0)
	v_or_b32_e32 v3, s27, v7
	v_cmp_ne_u64_e32 vcc, 0, v[2:3]
	s_and_saveexec_b64 s[2:3], vcc
	s_xor_b64 s[28:29], exec, s[2:3]
	s_cbranch_execz .LBB39_7
; %bb.6:                                ;   in Loop: Header=BB39_5 Depth=2
	s_ashr_i32 s30, s27, 31
	s_add_u32 s2, s26, s30
	s_mov_b32 s31, s30
	s_addc_u32 s3, s27, s30
	s_xor_b64 s[34:35], s[2:3], s[30:31]
	v_cvt_f32_u32_e32 v3, s34
	v_cvt_f32_u32_e32 v8, s35
	s_sub_u32 s2, 0, s34
	s_subb_u32 s3, 0, s35
	v_mac_f32_e32 v3, 0x4f800000, v8
	v_rcp_f32_e32 v3, v3
	v_mul_f32_e32 v3, 0x5f7ffffc, v3
	v_mul_f32_e32 v8, 0x2f800000, v3
	v_trunc_f32_e32 v8, v8
	v_mac_f32_e32 v3, 0xcf800000, v8
	v_cvt_u32_f32_e32 v8, v8
	v_cvt_u32_f32_e32 v3, v3
	v_mul_lo_u32 v9, s2, v8
	v_mul_hi_u32 v12, s2, v3
	v_mul_lo_u32 v11, s3, v3
	v_add_u32_e32 v9, v12, v9
	v_mul_lo_u32 v13, s2, v3
	v_add_u32_e32 v9, v9, v11
	v_mul_lo_u32 v12, v3, v9
	v_mul_hi_u32 v14, v3, v13
	v_mul_hi_u32 v11, v3, v9
	v_add_co_u32_e32 v12, vcc, v14, v12
	v_addc_co_u32_e32 v11, vcc, 0, v11, vcc
	v_mul_hi_u32 v15, v8, v13
	v_mul_lo_u32 v13, v8, v13
	v_add_co_u32_e32 v12, vcc, v12, v13
	v_mul_hi_u32 v14, v8, v9
	v_addc_co_u32_e32 v11, vcc, v11, v15, vcc
	v_addc_co_u32_e32 v12, vcc, 0, v14, vcc
	v_mul_lo_u32 v9, v8, v9
	v_add_co_u32_e32 v9, vcc, v11, v9
	v_addc_co_u32_e32 v11, vcc, 0, v12, vcc
	v_add_co_u32_e32 v3, vcc, v3, v9
	v_addc_co_u32_e32 v8, vcc, v8, v11, vcc
	v_mul_lo_u32 v9, s2, v8
	v_mul_hi_u32 v11, s2, v3
	v_add_u32_e32 v9, v11, v9
	v_mul_lo_u32 v11, s3, v3
	v_add_u32_e32 v9, v9, v11
	v_mul_lo_u32 v12, s2, v3
	v_mul_hi_u32 v13, v8, v12
	v_mul_lo_u32 v14, v8, v12
	v_mul_lo_u32 v16, v3, v9
	v_mul_hi_u32 v12, v3, v12
	v_mul_hi_u32 v15, v3, v9
	v_add_co_u32_e32 v12, vcc, v12, v16
	v_addc_co_u32_e32 v15, vcc, 0, v15, vcc
	v_add_co_u32_e32 v12, vcc, v12, v14
	v_mul_hi_u32 v11, v8, v9
	v_addc_co_u32_e32 v12, vcc, v15, v13, vcc
	v_addc_co_u32_e32 v11, vcc, 0, v11, vcc
	v_mul_lo_u32 v9, v8, v9
	v_add_co_u32_e32 v9, vcc, v12, v9
	v_addc_co_u32_e32 v11, vcc, 0, v11, vcc
	v_add_co_u32_e32 v3, vcc, v3, v9
	v_addc_co_u32_e32 v11, vcc, v8, v11, vcc
	v_ashrrev_i32_e32 v14, 31, v7
	v_add_co_u32_e32 v8, vcc, v6, v14
	v_addc_co_u32_e32 v9, vcc, v7, v14, vcc
	v_xor_b32_e32 v16, v8, v14
	v_xor_b32_e32 v15, v9, v14
	v_mad_u64_u32 v[8:9], s[2:3], v16, v11, 0
	v_mul_hi_u32 v12, v16, v3
	v_add_co_u32_e32 v17, vcc, v12, v8
	v_addc_co_u32_e32 v18, vcc, 0, v9, vcc
	v_mad_u64_u32 v[12:13], s[2:3], v15, v3, 0
	v_add_co_u32_e32 v3, vcc, v17, v12
	v_mad_u64_u32 v[8:9], s[2:3], v15, v11, 0
	v_addc_co_u32_e32 v3, vcc, v18, v13, vcc
	v_addc_co_u32_e32 v9, vcc, 0, v9, vcc
	v_add_co_u32_e32 v3, vcc, v3, v8
	v_addc_co_u32_e32 v11, vcc, 0, v9, vcc
	v_mul_lo_u32 v12, s35, v3
	v_mul_lo_u32 v13, s34, v11
	v_mad_u64_u32 v[8:9], s[2:3], s34, v3, 0
	v_add3_u32 v9, v9, v13, v12
	v_sub_u32_e32 v12, v15, v9
	v_mov_b32_e32 v13, s35
	v_sub_co_u32_e32 v8, vcc, v16, v8
	v_subb_co_u32_e64 v12, s[2:3], v12, v13, vcc
	v_subrev_co_u32_e64 v13, s[2:3], s34, v8
	v_subbrev_co_u32_e64 v12, s[2:3], 0, v12, s[2:3]
	v_cmp_le_u32_e64 s[2:3], s35, v12
	v_cndmask_b32_e64 v16, 0, -1, s[2:3]
	v_cmp_le_u32_e64 s[2:3], s34, v13
	v_cndmask_b32_e64 v13, 0, -1, s[2:3]
	v_cmp_eq_u32_e64 s[2:3], s35, v12
	v_cndmask_b32_e64 v12, v16, v13, s[2:3]
	v_add_co_u32_e64 v13, s[2:3], 2, v3
	v_subb_co_u32_e32 v9, vcc, v15, v9, vcc
	v_addc_co_u32_e64 v16, s[2:3], 0, v11, s[2:3]
	v_cmp_le_u32_e32 vcc, s35, v9
	v_add_co_u32_e64 v17, s[2:3], 1, v3
	v_cndmask_b32_e64 v15, 0, -1, vcc
	v_cmp_le_u32_e32 vcc, s34, v8
	v_addc_co_u32_e64 v18, s[2:3], 0, v11, s[2:3]
	v_cndmask_b32_e64 v8, 0, -1, vcc
	v_cmp_eq_u32_e32 vcc, s35, v9
	v_cmp_ne_u32_e64 s[2:3], 0, v12
	v_cndmask_b32_e32 v8, v15, v8, vcc
	v_cmp_ne_u32_e32 vcc, 0, v8
	v_cndmask_b32_e64 v9, v17, v13, s[2:3]
	v_cndmask_b32_e64 v12, v18, v16, s[2:3]
	v_cndmask_b32_e32 v3, v3, v9, vcc
	v_xor_b32_e32 v9, s30, v14
	v_cndmask_b32_e32 v8, v11, v12, vcc
	v_xor_b32_e32 v3, v3, v9
	v_xor_b32_e32 v11, v8, v9
	v_sub_co_u32_e32 v8, vcc, v3, v9
	v_subb_co_u32_e32 v9, vcc, v11, v9, vcc
.LBB39_7:                               ;   in Loop: Header=BB39_5 Depth=2
	s_andn2_saveexec_b64 s[2:3], s[28:29]
	s_cbranch_execz .LBB39_9
; %bb.8:                                ;   in Loop: Header=BB39_5 Depth=2
	v_cvt_f32_u32_e32 v3, s26
	s_sub_i32 s28, 0, s26
	v_rcp_iflag_f32_e32 v3, v3
	v_mul_f32_e32 v3, 0x4f7ffffe, v3
	v_cvt_u32_f32_e32 v3, v3
	v_mul_lo_u32 v8, s28, v3
	v_mul_hi_u32 v8, v3, v8
	v_add_u32_e32 v3, v3, v8
	v_mul_hi_u32 v3, v6, v3
	v_mul_lo_u32 v8, v3, s26
	v_sub_u32_e32 v8, v6, v8
	v_add_u32_e32 v9, 1, v3
	v_subrev_u32_e32 v11, s26, v8
	v_cmp_le_u32_e32 vcc, s26, v8
	v_cndmask_b32_e32 v8, v8, v11, vcc
	v_cndmask_b32_e32 v3, v3, v9, vcc
	v_add_u32_e32 v9, 1, v3
	v_cmp_le_u32_e32 vcc, s26, v8
	v_cndmask_b32_e32 v8, v3, v9, vcc
	v_mov_b32_e32 v9, v2
.LBB39_9:                               ;   in Loop: Header=BB39_5 Depth=2
	s_or_b64 exec, exec, s[2:3]
	v_mad_u64_u32 v[12:13], s[2:3], v8, s26, 0
	s_load_dwordx2 s[2:3], s[24:25], 0xc8
	v_mul_lo_u32 v3, v9, s26
	v_mul_lo_u32 v11, v8, s27
	v_add3_u32 v3, v13, v11, v3
	v_sub_co_u32_e32 v6, vcc, v6, v12
	s_add_i32 s40, s40, -1
	v_subb_co_u32_e32 v3, vcc, v7, v3, vcc
	s_add_u32 s24, s24, -8
	s_waitcnt lgkmcnt(0)
	v_mul_lo_u32 v3, s2, v3
	v_mul_lo_u32 v7, s3, v6
	v_mad_u64_u32 v[4:5], s[2:3], s2, v6, v[4:5]
	s_addc_u32 s25, s25, -1
	s_cmp_gt_u32 s40, 2
	v_add3_u32 v5, v7, v5, v3
	s_cbranch_scc0 .LBB39_11
; %bb.10:                               ;   in Loop: Header=BB39_5 Depth=2
	v_pk_mov_b32 v[6:7], v[8:9], v[8:9] op_sel:[0,1]
	s_branch .LBB39_5
.LBB39_11:                              ;   in Loop: Header=BB39_4 Depth=1
	s_waitcnt lgkmcnt(0)
	v_mul_lo_u32 v3, s19, v8
	v_mul_lo_u32 v9, s18, v9
	v_mad_u64_u32 v[6:7], s[2:3], s18, v8, 0
	v_add3_u32 v7, v7, v9, v3
	v_lshlrev_b64 v[6:7], 3, v[6:7]
	v_mov_b32_e32 v3, s21
	v_add_co_u32_e32 v6, vcc, s20, v6
	v_addc_co_u32_e32 v3, vcc, v3, v7, vcc
	v_lshlrev_b64 v[4:5], 3, v[4:5]
	v_add_co_u32_e32 v4, vcc, v6, v4
	v_addc_co_u32_e32 v5, vcc, v3, v5, vcc
	global_load_dwordx2 v[4:5], v[4:5], off
	s_waitcnt vmcnt(0)
	v_cmp_le_i64_e32 vcc, s[10:11], v[4:5]
	v_cmp_ge_i64_e64 s[2:3], s[12:13], v[4:5]
	s_and_b64 s[2:3], vcc, s[2:3]
	s_and_saveexec_b64 s[24:25], s[2:3]
	s_cbranch_execz .LBB39_3
; %bb.12:                               ;   in Loop: Header=BB39_4 Depth=1
	v_mov_b32_e32 v3, s11
	v_subrev_co_u32_e32 v4, vcc, s10, v4
	v_subb_co_u32_e32 v3, vcc, v5, v3, vcc
	v_mul_lo_u32 v3, v3, s8
	v_mul_lo_u32 v6, v4, s9
	v_mad_u64_u32 v[4:5], s[2:3], v4, s8, 0
	v_add3_u32 v5, v5, v6, v3
	v_or_b32_e32 v3, s36, v5
	v_cmp_ne_u64_e32 vcc, 0, v[2:3]
                                        ; implicit-def: $vgpr6_vgpr7
	s_and_saveexec_b64 s[2:3], vcc
	s_xor_b64 s[26:27], exec, s[2:3]
	s_cbranch_execz .LBB39_14
; %bb.13:                               ;   in Loop: Header=BB39_4 Depth=1
	s_ashr_i32 s28, s36, 31
	s_add_u32 s2, s33, s28
	s_mov_b32 s29, s28
	s_addc_u32 s3, s36, s28
	s_xor_b64 s[30:31], s[2:3], s[28:29]
	v_cvt_f32_u32_e32 v3, s30
	v_cvt_f32_u32_e32 v6, s31
	s_sub_u32 s2, 0, s30
	s_subb_u32 s3, 0, s31
	v_mac_f32_e32 v3, 0x4f800000, v6
	v_rcp_f32_e32 v3, v3
	v_mul_f32_e32 v3, 0x5f7ffffc, v3
	v_mul_f32_e32 v6, 0x2f800000, v3
	v_trunc_f32_e32 v6, v6
	v_mac_f32_e32 v3, 0xcf800000, v6
	v_cvt_u32_f32_e32 v6, v6
	v_cvt_u32_f32_e32 v3, v3
	v_mul_lo_u32 v7, s2, v6
	v_mul_hi_u32 v9, s2, v3
	v_mul_lo_u32 v8, s3, v3
	v_add_u32_e32 v7, v9, v7
	v_mul_lo_u32 v11, s2, v3
	v_add_u32_e32 v7, v7, v8
	v_mul_lo_u32 v9, v3, v7
	v_mul_hi_u32 v12, v3, v11
	v_mul_hi_u32 v8, v3, v7
	v_add_co_u32_e32 v9, vcc, v12, v9
	v_addc_co_u32_e32 v8, vcc, 0, v8, vcc
	v_mul_hi_u32 v13, v6, v11
	v_mul_lo_u32 v11, v6, v11
	v_add_co_u32_e32 v9, vcc, v9, v11
	v_mul_hi_u32 v12, v6, v7
	v_addc_co_u32_e32 v8, vcc, v8, v13, vcc
	v_addc_co_u32_e32 v9, vcc, 0, v12, vcc
	v_mul_lo_u32 v7, v6, v7
	v_add_co_u32_e32 v7, vcc, v8, v7
	v_addc_co_u32_e32 v8, vcc, 0, v9, vcc
	v_add_co_u32_e32 v3, vcc, v3, v7
	v_addc_co_u32_e32 v6, vcc, v6, v8, vcc
	v_mul_lo_u32 v7, s2, v6
	v_mul_hi_u32 v8, s2, v3
	v_add_u32_e32 v7, v8, v7
	v_mul_lo_u32 v8, s3, v3
	v_add_u32_e32 v7, v7, v8
	v_mul_lo_u32 v9, s2, v3
	v_mul_hi_u32 v11, v6, v9
	v_mul_lo_u32 v12, v6, v9
	v_mul_lo_u32 v14, v3, v7
	v_mul_hi_u32 v9, v3, v9
	v_mul_hi_u32 v13, v3, v7
	v_add_co_u32_e32 v9, vcc, v9, v14
	v_addc_co_u32_e32 v13, vcc, 0, v13, vcc
	v_add_co_u32_e32 v9, vcc, v9, v12
	v_mul_hi_u32 v8, v6, v7
	v_addc_co_u32_e32 v9, vcc, v13, v11, vcc
	v_addc_co_u32_e32 v8, vcc, 0, v8, vcc
	v_mul_lo_u32 v7, v6, v7
	v_add_co_u32_e32 v7, vcc, v9, v7
	v_addc_co_u32_e32 v8, vcc, 0, v8, vcc
	v_add_co_u32_e32 v3, vcc, v3, v7
	v_addc_co_u32_e32 v6, vcc, v6, v8, vcc
	v_ashrrev_i32_e32 v8, 31, v5
	v_add_co_u32_e32 v4, vcc, v4, v8
	v_addc_co_u32_e32 v5, vcc, v5, v8, vcc
	v_xor_b32_e32 v11, v4, v8
	v_xor_b32_e32 v9, v5, v8
	v_mad_u64_u32 v[4:5], s[2:3], v11, v6, 0
	v_mul_hi_u32 v7, v11, v3
	v_add_co_u32_e32 v12, vcc, v7, v4
	v_addc_co_u32_e32 v13, vcc, 0, v5, vcc
	v_mad_u64_u32 v[4:5], s[2:3], v9, v6, 0
	v_mad_u64_u32 v[6:7], s[2:3], v9, v3, 0
	v_add_co_u32_e32 v3, vcc, v12, v6
	v_addc_co_u32_e32 v3, vcc, v13, v7, vcc
	v_addc_co_u32_e32 v5, vcc, 0, v5, vcc
	v_add_co_u32_e32 v3, vcc, v3, v4
	v_addc_co_u32_e32 v4, vcc, 0, v5, vcc
	v_mul_lo_u32 v6, s31, v3
	v_mul_lo_u32 v7, s30, v4
	v_mad_u64_u32 v[4:5], s[2:3], s30, v3, 0
	v_add3_u32 v5, v5, v7, v6
	v_sub_u32_e32 v6, v9, v5
	v_mov_b32_e32 v7, s31
	v_sub_co_u32_e32 v4, vcc, v11, v4
	v_subb_co_u32_e64 v6, s[2:3], v6, v7, vcc
	v_subrev_co_u32_e64 v7, s[2:3], s30, v4
	v_subbrev_co_u32_e64 v6, s[2:3], 0, v6, s[2:3]
	v_cmp_le_u32_e64 s[2:3], s31, v6
	v_subb_co_u32_e32 v5, vcc, v9, v5, vcc
	v_cndmask_b32_e64 v11, 0, -1, s[2:3]
	v_cmp_le_u32_e64 s[2:3], s30, v7
	v_cmp_le_u32_e32 vcc, s31, v5
	v_cndmask_b32_e64 v7, 0, -1, s[2:3]
	v_cmp_eq_u32_e64 s[2:3], s31, v6
	v_cndmask_b32_e64 v9, 0, -1, vcc
	v_cmp_le_u32_e32 vcc, s30, v4
	v_cndmask_b32_e64 v6, v11, v7, s[2:3]
	v_cndmask_b32_e64 v4, 0, -1, vcc
	v_cmp_eq_u32_e32 vcc, s31, v5
	v_add_co_u32_e64 v7, s[2:3], 2, v3
	v_add_co_u32_e64 v11, s[2:3], 1, v3
	v_cndmask_b32_e32 v4, v9, v4, vcc
	v_cmp_ne_u32_e32 vcc, 0, v6
	v_cndmask_b32_e32 v5, v11, v7, vcc
	v_cmp_ne_u32_e32 vcc, 0, v4
	v_cndmask_b32_e32 v3, v3, v5, vcc
	v_xor_b32_e32 v4, s28, v8
	v_xor_b32_e32 v3, v3, v4
	v_sub_co_u32_e32 v6, vcc, v3, v4
                                        ; implicit-def: $vgpr4_vgpr5
.LBB39_14:                              ;   in Loop: Header=BB39_4 Depth=1
	s_andn2_saveexec_b64 s[2:3], s[26:27]
	s_cbranch_execz .LBB39_2
; %bb.15:                               ;   in Loop: Header=BB39_4 Depth=1
	v_cvt_f32_u32_e32 v3, s33
	s_sub_i32 s26, 0, s33
	v_rcp_iflag_f32_e32 v3, v3
	v_mul_f32_e32 v3, 0x4f7ffffe, v3
	v_cvt_u32_f32_e32 v3, v3
	v_mul_lo_u32 v5, s26, v3
	v_mul_hi_u32 v5, v3, v5
	v_add_u32_e32 v3, v3, v5
	v_mul_hi_u32 v3, v4, v3
	v_mul_lo_u32 v5, v3, s33
	v_sub_u32_e32 v4, v4, v5
	v_add_u32_e32 v6, 1, v3
	v_subrev_u32_e32 v5, s33, v4
	v_cmp_le_u32_e32 vcc, s33, v4
	v_cndmask_b32_e32 v4, v4, v5, vcc
	v_cndmask_b32_e32 v3, v3, v6, vcc
	v_add_u32_e32 v5, 1, v3
	v_cmp_le_u32_e32 vcc, s33, v4
	v_cndmask_b32_e32 v6, v3, v5, vcc
	s_branch .LBB39_2
.LBB39_16:
	s_endpgm
	.section	.rodata,"a",@progbits
	.p2align	6, 0x0
	.amdhsa_kernel _ZN2at4cuda17kernelHistogram1DIfllLi1ELi2ELin1ELNS0_23CUDAHistogramMemoryTypeE1EZNS0_21CUDA_tensor_histogramIflLb1EEEbNS_6TensorES4_S4_lNS_14AccumulateTypeIT0_Lb1EE4typeES8_NS0_13TensorArgTypeES9_S9_EUllE0_EEvNS0_6detail10TensorInfoIT_T1_EESF_NSC_IKS6_SE_EElS8_S8_SE_T6_
		.amdhsa_group_segment_fixed_size 0
		.amdhsa_private_segment_fixed_size 0
		.amdhsa_kernarg_size 1544
		.amdhsa_user_sgpr_count 6
		.amdhsa_user_sgpr_private_segment_buffer 1
		.amdhsa_user_sgpr_dispatch_ptr 0
		.amdhsa_user_sgpr_queue_ptr 0
		.amdhsa_user_sgpr_kernarg_segment_ptr 1
		.amdhsa_user_sgpr_dispatch_id 0
		.amdhsa_user_sgpr_flat_scratch_init 0
		.amdhsa_user_sgpr_kernarg_preload_length 0
		.amdhsa_user_sgpr_kernarg_preload_offset 0
		.amdhsa_user_sgpr_private_segment_size 0
		.amdhsa_uses_dynamic_stack 0
		.amdhsa_system_sgpr_private_segment_wavefront_offset 0
		.amdhsa_system_sgpr_workgroup_id_x 1
		.amdhsa_system_sgpr_workgroup_id_y 0
		.amdhsa_system_sgpr_workgroup_id_z 0
		.amdhsa_system_sgpr_workgroup_info 0
		.amdhsa_system_vgpr_workitem_id 0
		.amdhsa_next_free_vgpr 19
		.amdhsa_next_free_sgpr 41
		.amdhsa_accum_offset 20
		.amdhsa_reserve_vcc 1
		.amdhsa_reserve_flat_scratch 0
		.amdhsa_float_round_mode_32 0
		.amdhsa_float_round_mode_16_64 0
		.amdhsa_float_denorm_mode_32 3
		.amdhsa_float_denorm_mode_16_64 3
		.amdhsa_dx10_clamp 1
		.amdhsa_ieee_mode 1
		.amdhsa_fp16_overflow 0
		.amdhsa_tg_split 0
		.amdhsa_exception_fp_ieee_invalid_op 0
		.amdhsa_exception_fp_denorm_src 0
		.amdhsa_exception_fp_ieee_div_zero 0
		.amdhsa_exception_fp_ieee_overflow 0
		.amdhsa_exception_fp_ieee_underflow 0
		.amdhsa_exception_fp_ieee_inexact 0
		.amdhsa_exception_int_div_zero 0
	.end_amdhsa_kernel
	.section	.text._ZN2at4cuda17kernelHistogram1DIfllLi1ELi2ELin1ELNS0_23CUDAHistogramMemoryTypeE1EZNS0_21CUDA_tensor_histogramIflLb1EEEbNS_6TensorES4_S4_lNS_14AccumulateTypeIT0_Lb1EE4typeES8_NS0_13TensorArgTypeES9_S9_EUllE0_EEvNS0_6detail10TensorInfoIT_T1_EESF_NSC_IKS6_SE_EElS8_S8_SE_T6_,"axG",@progbits,_ZN2at4cuda17kernelHistogram1DIfllLi1ELi2ELin1ELNS0_23CUDAHistogramMemoryTypeE1EZNS0_21CUDA_tensor_histogramIflLb1EEEbNS_6TensorES4_S4_lNS_14AccumulateTypeIT0_Lb1EE4typeES8_NS0_13TensorArgTypeES9_S9_EUllE0_EEvNS0_6detail10TensorInfoIT_T1_EESF_NSC_IKS6_SE_EElS8_S8_SE_T6_,comdat
.Lfunc_end39:
	.size	_ZN2at4cuda17kernelHistogram1DIfllLi1ELi2ELin1ELNS0_23CUDAHistogramMemoryTypeE1EZNS0_21CUDA_tensor_histogramIflLb1EEEbNS_6TensorES4_S4_lNS_14AccumulateTypeIT0_Lb1EE4typeES8_NS0_13TensorArgTypeES9_S9_EUllE0_EEvNS0_6detail10TensorInfoIT_T1_EESF_NSC_IKS6_SE_EElS8_S8_SE_T6_, .Lfunc_end39-_ZN2at4cuda17kernelHistogram1DIfllLi1ELi2ELin1ELNS0_23CUDAHistogramMemoryTypeE1EZNS0_21CUDA_tensor_histogramIflLb1EEEbNS_6TensorES4_S4_lNS_14AccumulateTypeIT0_Lb1EE4typeES8_NS0_13TensorArgTypeES9_S9_EUllE0_EEvNS0_6detail10TensorInfoIT_T1_EESF_NSC_IKS6_SE_EElS8_S8_SE_T6_
                                        ; -- End function
	.section	.AMDGPU.csdata,"",@progbits
; Kernel info:
; codeLenInByte = 2212
; NumSgprs: 45
; NumVgprs: 19
; NumAgprs: 0
; TotalNumVgprs: 19
; ScratchSize: 0
; MemoryBound: 0
; FloatMode: 240
; IeeeMode: 1
; LDSByteSize: 0 bytes/workgroup (compile time only)
; SGPRBlocks: 5
; VGPRBlocks: 2
; NumSGPRsForWavesPerEU: 45
; NumVGPRsForWavesPerEU: 19
; AccumOffset: 20
; Occupancy: 8
; WaveLimiterHint : 1
; COMPUTE_PGM_RSRC2:SCRATCH_EN: 0
; COMPUTE_PGM_RSRC2:USER_SGPR: 6
; COMPUTE_PGM_RSRC2:TRAP_HANDLER: 0
; COMPUTE_PGM_RSRC2:TGID_X_EN: 1
; COMPUTE_PGM_RSRC2:TGID_Y_EN: 0
; COMPUTE_PGM_RSRC2:TGID_Z_EN: 0
; COMPUTE_PGM_RSRC2:TIDIG_COMP_CNT: 0
; COMPUTE_PGM_RSRC3_GFX90A:ACCUM_OFFSET: 4
; COMPUTE_PGM_RSRC3_GFX90A:TG_SPLIT: 0
	.section	.text._ZN2at4cuda17kernelHistogram1DIlllLi1ELi2ELin1ELNS0_23CUDAHistogramMemoryTypeE0EZNS0_21CUDA_tensor_histogramIllLb0EEEbNS_6TensorES4_S4_lNS_14AccumulateTypeIT0_Lb1EE4typeES8_NS0_13TensorArgTypeES9_S9_EUllE_EEvNS0_6detail10TensorInfoIT_T1_EESF_NSC_IKS6_SE_EElS8_S8_SE_T6_,"axG",@progbits,_ZN2at4cuda17kernelHistogram1DIlllLi1ELi2ELin1ELNS0_23CUDAHistogramMemoryTypeE0EZNS0_21CUDA_tensor_histogramIllLb0EEEbNS_6TensorES4_S4_lNS_14AccumulateTypeIT0_Lb1EE4typeES8_NS0_13TensorArgTypeES9_S9_EUllE_EEvNS0_6detail10TensorInfoIT_T1_EESF_NSC_IKS6_SE_EElS8_S8_SE_T6_,comdat
	.protected	_ZN2at4cuda17kernelHistogram1DIlllLi1ELi2ELin1ELNS0_23CUDAHistogramMemoryTypeE0EZNS0_21CUDA_tensor_histogramIllLb0EEEbNS_6TensorES4_S4_lNS_14AccumulateTypeIT0_Lb1EE4typeES8_NS0_13TensorArgTypeES9_S9_EUllE_EEvNS0_6detail10TensorInfoIT_T1_EESF_NSC_IKS6_SE_EElS8_S8_SE_T6_ ; -- Begin function _ZN2at4cuda17kernelHistogram1DIlllLi1ELi2ELin1ELNS0_23CUDAHistogramMemoryTypeE0EZNS0_21CUDA_tensor_histogramIllLb0EEEbNS_6TensorES4_S4_lNS_14AccumulateTypeIT0_Lb1EE4typeES8_NS0_13TensorArgTypeES9_S9_EUllE_EEvNS0_6detail10TensorInfoIT_T1_EESF_NSC_IKS6_SE_EElS8_S8_SE_T6_
	.globl	_ZN2at4cuda17kernelHistogram1DIlllLi1ELi2ELin1ELNS0_23CUDAHistogramMemoryTypeE0EZNS0_21CUDA_tensor_histogramIllLb0EEEbNS_6TensorES4_S4_lNS_14AccumulateTypeIT0_Lb1EE4typeES8_NS0_13TensorArgTypeES9_S9_EUllE_EEvNS0_6detail10TensorInfoIT_T1_EESF_NSC_IKS6_SE_EElS8_S8_SE_T6_
	.p2align	8
	.type	_ZN2at4cuda17kernelHistogram1DIlllLi1ELi2ELin1ELNS0_23CUDAHistogramMemoryTypeE0EZNS0_21CUDA_tensor_histogramIllLb0EEEbNS_6TensorES4_S4_lNS_14AccumulateTypeIT0_Lb1EE4typeES8_NS0_13TensorArgTypeES9_S9_EUllE_EEvNS0_6detail10TensorInfoIT_T1_EESF_NSC_IKS6_SE_EElS8_S8_SE_T6_,@function
_ZN2at4cuda17kernelHistogram1DIlllLi1ELi2ELin1ELNS0_23CUDAHistogramMemoryTypeE0EZNS0_21CUDA_tensor_histogramIllLb0EEEbNS_6TensorES4_S4_lNS_14AccumulateTypeIT0_Lb1EE4typeES8_NS0_13TensorArgTypeES9_S9_EUllE_EEvNS0_6detail10TensorInfoIT_T1_EESF_NSC_IKS6_SE_EElS8_S8_SE_T6_: ; @_ZN2at4cuda17kernelHistogram1DIlllLi1ELi2ELin1ELNS0_23CUDAHistogramMemoryTypeE0EZNS0_21CUDA_tensor_histogramIllLb0EEEbNS_6TensorES4_S4_lNS_14AccumulateTypeIT0_Lb1EE4typeES8_NS0_13TensorArgTypeES9_S9_EUllE_EEvNS0_6detail10TensorInfoIT_T1_EESF_NSC_IKS6_SE_EElS8_S8_SE_T6_
; %bb.0:
	s_load_dwordx4 s[16:19], s[4:5], 0x0
	s_load_dwordx2 s[20:21], s[4:5], 0x500
	s_load_dwordx8 s[8:15], s[4:5], 0x4e0
	v_mov_b32_e32 v1, 0
	s_add_u32 s2, s4, 0x6a0
	s_waitcnt lgkmcnt(0)
	v_cmp_gt_i64_e64 s[0:1], s[18:19], v[0:1]
	v_cmp_le_i64_e32 vcc, s[18:19], v[0:1]
	s_addc_u32 s3, s5, 0
                                        ; implicit-def: $sgpr7
                                        ; implicit-def: $sgpr28
	s_and_saveexec_b64 s[22:23], vcc
	s_xor_b64 s[22:23], exec, s[22:23]
	s_cbranch_execz .LBB40_2
; %bb.1:
	s_load_dword s7, s[2:3], 0xc
	s_waitcnt lgkmcnt(0)
	s_and_b32 s28, s7, 0xffff
.LBB40_2:
	s_or_saveexec_b64 s[26:27], s[22:23]
	s_load_dwordx2 s[22:23], s[4:5], 0xd0
	s_load_dwordx2 s[24:25], s[4:5], 0x5d0
	v_mov_b32_e32 v7, s7
	v_mov_b32_e32 v15, s28
	v_lshl_add_u32 v14, v0, 3, 0
	s_xor_b64 exec, exec, s[26:27]
	s_cbranch_execz .LBB40_6
; %bb.3:
	s_load_dword s7, s[2:3], 0xc
	s_mov_b32 s33, 0
	v_mov_b32_e32 v2, 0
	v_lshl_add_u32 v6, v0, 3, 0
	s_mov_b64 s[28:29], 0
	s_waitcnt lgkmcnt(0)
	s_and_b32 s30, s7, 0xffff
	s_lshl_b32 s31, s30, 3
	v_mov_b32_e32 v3, v2
	v_mov_b32_e32 v7, s33
	v_pk_mov_b32 v[4:5], v[0:1], v[0:1] op_sel:[0,1]
.LBB40_4:                               ; =>This Inner Loop Header: Depth=1
	v_add_co_u32_e32 v4, vcc, s30, v4
	v_addc_co_u32_e32 v5, vcc, v5, v7, vcc
	v_cmp_le_i64_e32 vcc, s[18:19], v[4:5]
	ds_write_b64 v6, v[2:3]
	s_or_b64 s[28:29], vcc, s[28:29]
	v_add_u32_e32 v6, s31, v6
	s_andn2_b64 exec, exec, s[28:29]
	s_cbranch_execnz .LBB40_4
; %bb.5:
	s_or_b64 exec, exec, s[28:29]
	v_mov_b32_e32 v7, s7
	v_mov_b32_e32 v15, s30
.LBB40_6:
	s_or_b64 exec, exec, s[26:27]
	v_mad_u64_u32 v[2:3], s[6:7], s6, v15, v[0:1]
	v_mov_b32_e32 v4, 0
	v_mov_b32_e32 v3, v4
	v_cmp_gt_i64_e32 vcc, s[14:15], v[2:3]
	s_waitcnt lgkmcnt(0)
	s_barrier
	s_and_saveexec_b64 s[6:7], vcc
	s_cbranch_execz .LBB40_22
; %bb.7:
	s_load_dword s30, s[4:5], 0x4d8
	s_load_dwordx2 s[26:27], s[4:5], 0x410
	s_load_dwordx2 s[28:29], s[4:5], 0x340
	s_add_u32 s31, s4, 0x340
	s_addc_u32 s35, s5, 0
	s_waitcnt lgkmcnt(0)
	s_cmp_gt_i32 s30, 1
	s_load_dword s34, s[2:3], 0x0
	s_cselect_b64 s[2:3], -1, 0
	s_sub_u32 s33, s12, s10
	s_subb_u32 s46, s13, s11
	s_mov_b32 s5, 0
	s_add_i32 s4, s30, -1
	s_add_i32 s47, s30, 1
	s_lshl_b64 s[4:5], s[4:5], 3
	s_add_u32 s4, s4, s31
	s_addc_u32 s5, s5, s35
	s_add_u32 s30, s4, 8
	v_cndmask_b32_e64 v5, 0, 1, s[2:3]
	s_waitcnt lgkmcnt(0)
	v_mul_lo_u32 v6, s34, v15
	s_addc_u32 s31, s5, 0
	s_mov_b64 s[34:35], 0
	v_cmp_ne_u32_e64 s[2:3], 1, v5
	s_branch .LBB40_10
.LBB40_8:                               ;   in Loop: Header=BB40_10 Depth=1
	s_or_b64 exec, exec, s[4:5]
	v_mul_lo_u32 v5, v3, s24
	v_mul_lo_u32 v11, v2, s25
	v_mad_u64_u32 v[8:9], s[4:5], v2, s24, 0
	v_add3_u32 v9, v9, v11, v5
	v_lshlrev_b64 v[8:9], 3, v[8:9]
	v_mov_b32_e32 v5, s21
	v_add_co_u32_e32 v8, vcc, s20, v8
	v_addc_co_u32_e32 v9, vcc, v5, v9, vcc
	global_load_dwordx2 v[8:9], v[8:9], off
	v_ashrrev_i32_e32 v11, 31, v10
	v_cmp_eq_u64_e32 vcc, s[8:9], v[10:11]
	v_subbrev_co_u32_e32 v5, vcc, 0, v10, vcc
	v_lshl_add_u32 v5, v5, 3, 0
	s_waitcnt vmcnt(0)
	ds_add_u64 v5, v[8:9]
.LBB40_9:                               ;   in Loop: Header=BB40_10 Depth=1
	s_or_b64 exec, exec, s[36:37]
	v_add_co_u32_e32 v2, vcc, v2, v6
	v_addc_co_u32_e32 v3, vcc, 0, v3, vcc
	v_cmp_le_i64_e32 vcc, s[14:15], v[2:3]
	s_or_b64 s[34:35], vcc, s[34:35]
	s_andn2_b64 exec, exec, s[34:35]
	s_cbranch_execz .LBB40_22
.LBB40_10:                              ; =>This Loop Header: Depth=1
                                        ;     Child Loop BB40_11 Depth 2
	s_and_b64 vcc, exec, s[2:3]
	v_pk_mov_b32 v[8:9], 0, 0
	s_mov_b64 s[36:37], s[30:31]
	s_mov_b32 s48, s47
	v_pk_mov_b32 v[10:11], v[2:3], v[2:3] op_sel:[0,1]
	v_pk_mov_b32 v[12:13], v[2:3], v[2:3] op_sel:[0,1]
	s_cbranch_vccnz .LBB40_17
.LBB40_11:                              ;   Parent Loop BB40_10 Depth=1
                                        ; =>  This Inner Loop Header: Depth=2
	s_load_dwordx2 s[38:39], s[36:37], 0x0
                                        ; implicit-def: $vgpr12_vgpr13
	s_waitcnt lgkmcnt(0)
	v_or_b32_e32 v5, s39, v11
	v_cmp_ne_u64_e32 vcc, 0, v[4:5]
	s_and_saveexec_b64 s[4:5], vcc
	s_xor_b64 s[40:41], exec, s[4:5]
	s_cbranch_execz .LBB40_13
; %bb.12:                               ;   in Loop: Header=BB40_11 Depth=2
	s_ashr_i32 s42, s39, 31
	s_add_u32 s4, s38, s42
	s_mov_b32 s43, s42
	s_addc_u32 s5, s39, s42
	s_xor_b64 s[44:45], s[4:5], s[42:43]
	v_cvt_f32_u32_e32 v5, s44
	v_cvt_f32_u32_e32 v12, s45
	s_sub_u32 s4, 0, s44
	s_subb_u32 s5, 0, s45
	v_mac_f32_e32 v5, 0x4f800000, v12
	v_rcp_f32_e32 v5, v5
	v_mul_f32_e32 v5, 0x5f7ffffc, v5
	v_mul_f32_e32 v12, 0x2f800000, v5
	v_trunc_f32_e32 v12, v12
	v_mac_f32_e32 v5, 0xcf800000, v12
	v_cvt_u32_f32_e32 v12, v12
	v_cvt_u32_f32_e32 v5, v5
	v_mul_lo_u32 v13, s4, v12
	v_mul_hi_u32 v17, s4, v5
	v_mul_lo_u32 v16, s5, v5
	v_add_u32_e32 v13, v17, v13
	v_mul_lo_u32 v18, s4, v5
	v_add_u32_e32 v13, v13, v16
	v_mul_lo_u32 v17, v5, v13
	v_mul_hi_u32 v19, v5, v18
	v_mul_hi_u32 v16, v5, v13
	v_add_co_u32_e32 v17, vcc, v19, v17
	v_addc_co_u32_e32 v16, vcc, 0, v16, vcc
	v_mul_hi_u32 v20, v12, v18
	v_mul_lo_u32 v18, v12, v18
	v_add_co_u32_e32 v17, vcc, v17, v18
	v_mul_hi_u32 v19, v12, v13
	v_addc_co_u32_e32 v16, vcc, v16, v20, vcc
	v_addc_co_u32_e32 v17, vcc, 0, v19, vcc
	v_mul_lo_u32 v13, v12, v13
	v_add_co_u32_e32 v13, vcc, v16, v13
	v_addc_co_u32_e32 v16, vcc, 0, v17, vcc
	v_add_co_u32_e32 v5, vcc, v5, v13
	v_addc_co_u32_e32 v12, vcc, v12, v16, vcc
	v_mul_lo_u32 v13, s4, v12
	v_mul_hi_u32 v16, s4, v5
	v_add_u32_e32 v13, v16, v13
	v_mul_lo_u32 v16, s5, v5
	v_add_u32_e32 v13, v13, v16
	v_mul_lo_u32 v17, s4, v5
	v_mul_hi_u32 v18, v12, v17
	v_mul_lo_u32 v19, v12, v17
	v_mul_lo_u32 v21, v5, v13
	v_mul_hi_u32 v17, v5, v17
	v_mul_hi_u32 v20, v5, v13
	v_add_co_u32_e32 v17, vcc, v17, v21
	v_addc_co_u32_e32 v20, vcc, 0, v20, vcc
	v_add_co_u32_e32 v17, vcc, v17, v19
	v_mul_hi_u32 v16, v12, v13
	v_addc_co_u32_e32 v17, vcc, v20, v18, vcc
	v_addc_co_u32_e32 v16, vcc, 0, v16, vcc
	v_mul_lo_u32 v13, v12, v13
	v_add_co_u32_e32 v13, vcc, v17, v13
	v_addc_co_u32_e32 v16, vcc, 0, v16, vcc
	v_add_co_u32_e32 v5, vcc, v5, v13
	v_addc_co_u32_e32 v16, vcc, v12, v16, vcc
	v_ashrrev_i32_e32 v18, 31, v11
	v_add_co_u32_e32 v12, vcc, v10, v18
	v_addc_co_u32_e32 v13, vcc, v11, v18, vcc
	v_xor_b32_e32 v20, v12, v18
	v_xor_b32_e32 v19, v13, v18
	v_mad_u64_u32 v[12:13], s[4:5], v20, v16, 0
	v_mul_hi_u32 v17, v20, v5
	v_add_co_u32_e32 v21, vcc, v17, v12
	v_addc_co_u32_e32 v22, vcc, 0, v13, vcc
	v_mad_u64_u32 v[12:13], s[4:5], v19, v16, 0
	v_mad_u64_u32 v[16:17], s[4:5], v19, v5, 0
	v_add_co_u32_e32 v5, vcc, v21, v16
	v_addc_co_u32_e32 v5, vcc, v22, v17, vcc
	v_addc_co_u32_e32 v13, vcc, 0, v13, vcc
	v_add_co_u32_e32 v5, vcc, v5, v12
	v_addc_co_u32_e32 v16, vcc, 0, v13, vcc
	v_mul_lo_u32 v17, s45, v5
	v_mul_lo_u32 v21, s44, v16
	v_mad_u64_u32 v[12:13], s[4:5], s44, v5, 0
	v_add3_u32 v13, v13, v21, v17
	v_sub_u32_e32 v17, v19, v13
	v_mov_b32_e32 v21, s45
	v_sub_co_u32_e32 v12, vcc, v20, v12
	v_subb_co_u32_e64 v17, s[4:5], v17, v21, vcc
	v_subrev_co_u32_e64 v20, s[4:5], s44, v12
	v_subbrev_co_u32_e64 v17, s[4:5], 0, v17, s[4:5]
	v_cmp_le_u32_e64 s[4:5], s45, v17
	v_cndmask_b32_e64 v21, 0, -1, s[4:5]
	v_cmp_le_u32_e64 s[4:5], s44, v20
	v_cndmask_b32_e64 v20, 0, -1, s[4:5]
	v_cmp_eq_u32_e64 s[4:5], s45, v17
	v_cndmask_b32_e64 v17, v21, v20, s[4:5]
	v_add_co_u32_e64 v20, s[4:5], 2, v5
	v_subb_co_u32_e32 v13, vcc, v19, v13, vcc
	v_addc_co_u32_e64 v21, s[4:5], 0, v16, s[4:5]
	v_cmp_le_u32_e32 vcc, s45, v13
	v_add_co_u32_e64 v22, s[4:5], 1, v5
	v_cndmask_b32_e64 v19, 0, -1, vcc
	v_cmp_le_u32_e32 vcc, s44, v12
	v_addc_co_u32_e64 v23, s[4:5], 0, v16, s[4:5]
	v_cndmask_b32_e64 v12, 0, -1, vcc
	v_cmp_eq_u32_e32 vcc, s45, v13
	v_cmp_ne_u32_e64 s[4:5], 0, v17
	v_cndmask_b32_e32 v12, v19, v12, vcc
	v_cmp_ne_u32_e32 vcc, 0, v12
	v_cndmask_b32_e64 v13, v22, v20, s[4:5]
	v_cndmask_b32_e64 v17, v23, v21, s[4:5]
	v_cndmask_b32_e32 v5, v5, v13, vcc
	v_xor_b32_e32 v13, s42, v18
	v_cndmask_b32_e32 v12, v16, v17, vcc
	v_xor_b32_e32 v5, v5, v13
	v_xor_b32_e32 v16, v12, v13
	v_sub_co_u32_e32 v12, vcc, v5, v13
	v_subb_co_u32_e32 v13, vcc, v16, v13, vcc
.LBB40_13:                              ;   in Loop: Header=BB40_11 Depth=2
	s_andn2_saveexec_b64 s[4:5], s[40:41]
	s_cbranch_execz .LBB40_15
; %bb.14:                               ;   in Loop: Header=BB40_11 Depth=2
	v_cvt_f32_u32_e32 v5, s38
	s_sub_i32 s40, 0, s38
	v_rcp_iflag_f32_e32 v5, v5
	v_mul_f32_e32 v5, 0x4f7ffffe, v5
	v_cvt_u32_f32_e32 v5, v5
	v_mul_lo_u32 v12, s40, v5
	v_mul_hi_u32 v12, v5, v12
	v_add_u32_e32 v5, v5, v12
	v_mul_hi_u32 v5, v10, v5
	v_mul_lo_u32 v12, v5, s38
	v_sub_u32_e32 v12, v10, v12
	v_add_u32_e32 v13, 1, v5
	v_subrev_u32_e32 v16, s38, v12
	v_cmp_le_u32_e32 vcc, s38, v12
	v_cndmask_b32_e32 v12, v12, v16, vcc
	v_cndmask_b32_e32 v5, v5, v13, vcc
	v_add_u32_e32 v13, 1, v5
	v_cmp_le_u32_e32 vcc, s38, v12
	v_cndmask_b32_e32 v12, v5, v13, vcc
	v_mov_b32_e32 v13, v4
.LBB40_15:                              ;   in Loop: Header=BB40_11 Depth=2
	s_or_b64 exec, exec, s[4:5]
	v_mad_u64_u32 v[16:17], s[4:5], v12, s38, 0
	s_load_dwordx2 s[4:5], s[36:37], 0xc8
	v_mul_lo_u32 v5, v13, s38
	v_mul_lo_u32 v18, v12, s39
	v_add3_u32 v5, v17, v18, v5
	v_sub_co_u32_e32 v10, vcc, v10, v16
	s_add_i32 s48, s48, -1
	v_subb_co_u32_e32 v5, vcc, v11, v5, vcc
	s_add_u32 s36, s36, -8
	s_waitcnt lgkmcnt(0)
	v_mul_lo_u32 v5, s4, v5
	v_mul_lo_u32 v11, s5, v10
	v_mad_u64_u32 v[8:9], s[4:5], s4, v10, v[8:9]
	s_addc_u32 s37, s37, -1
	s_cmp_gt_u32 s48, 2
	v_add3_u32 v9, v11, v9, v5
	s_cbranch_scc0 .LBB40_17
; %bb.16:                               ;   in Loop: Header=BB40_11 Depth=2
	v_pk_mov_b32 v[10:11], v[12:13], v[12:13] op_sel:[0,1]
	s_branch .LBB40_11
.LBB40_17:                              ;   in Loop: Header=BB40_10 Depth=1
	v_mul_lo_u32 v5, s27, v12
	v_mul_lo_u32 v13, s26, v13
	v_mad_u64_u32 v[10:11], s[4:5], s26, v12, 0
	v_add3_u32 v11, v11, v13, v5
	v_lshlrev_b64 v[10:11], 3, v[10:11]
	v_mov_b32_e32 v5, s29
	v_add_co_u32_e32 v10, vcc, s28, v10
	v_addc_co_u32_e32 v5, vcc, v5, v11, vcc
	v_lshlrev_b64 v[8:9], 3, v[8:9]
	v_add_co_u32_e32 v8, vcc, v10, v8
	v_addc_co_u32_e32 v9, vcc, v5, v9, vcc
	global_load_dwordx2 v[8:9], v[8:9], off
	s_waitcnt vmcnt(0)
	v_cmp_le_i64_e32 vcc, s[10:11], v[8:9]
	v_cmp_ge_i64_e64 s[4:5], s[12:13], v[8:9]
	s_and_b64 s[4:5], vcc, s[4:5]
	s_and_saveexec_b64 s[36:37], s[4:5]
	s_cbranch_execz .LBB40_9
; %bb.18:                               ;   in Loop: Header=BB40_10 Depth=1
	v_mov_b32_e32 v5, s11
	v_subrev_co_u32_e32 v8, vcc, s10, v8
	v_subb_co_u32_e32 v5, vcc, v9, v5, vcc
	v_mul_lo_u32 v5, v5, s8
	v_mul_lo_u32 v10, v8, s9
	v_mad_u64_u32 v[8:9], s[4:5], v8, s8, 0
	v_add3_u32 v9, v9, v10, v5
	v_or_b32_e32 v5, s46, v9
	v_cmp_ne_u64_e32 vcc, 0, v[4:5]
                                        ; implicit-def: $vgpr10_vgpr11
	s_and_saveexec_b64 s[4:5], vcc
	s_xor_b64 s[38:39], exec, s[4:5]
	s_cbranch_execz .LBB40_20
; %bb.19:                               ;   in Loop: Header=BB40_10 Depth=1
	s_ashr_i32 s40, s46, 31
	s_add_u32 s4, s33, s40
	s_mov_b32 s41, s40
	s_addc_u32 s5, s46, s40
	s_xor_b64 s[42:43], s[4:5], s[40:41]
	v_cvt_f32_u32_e32 v5, s42
	v_cvt_f32_u32_e32 v10, s43
	s_sub_u32 s4, 0, s42
	s_subb_u32 s5, 0, s43
	v_mac_f32_e32 v5, 0x4f800000, v10
	v_rcp_f32_e32 v5, v5
	v_mul_f32_e32 v5, 0x5f7ffffc, v5
	v_mul_f32_e32 v10, 0x2f800000, v5
	v_trunc_f32_e32 v10, v10
	v_mac_f32_e32 v5, 0xcf800000, v10
	v_cvt_u32_f32_e32 v10, v10
	v_cvt_u32_f32_e32 v5, v5
	v_mul_lo_u32 v11, s4, v10
	v_mul_hi_u32 v13, s4, v5
	v_mul_lo_u32 v12, s5, v5
	v_add_u32_e32 v11, v13, v11
	v_mul_lo_u32 v16, s4, v5
	v_add_u32_e32 v11, v11, v12
	v_mul_lo_u32 v13, v5, v11
	v_mul_hi_u32 v17, v5, v16
	v_mul_hi_u32 v12, v5, v11
	v_add_co_u32_e32 v13, vcc, v17, v13
	v_addc_co_u32_e32 v12, vcc, 0, v12, vcc
	v_mul_hi_u32 v18, v10, v16
	v_mul_lo_u32 v16, v10, v16
	v_add_co_u32_e32 v13, vcc, v13, v16
	v_mul_hi_u32 v17, v10, v11
	v_addc_co_u32_e32 v12, vcc, v12, v18, vcc
	v_addc_co_u32_e32 v13, vcc, 0, v17, vcc
	v_mul_lo_u32 v11, v10, v11
	v_add_co_u32_e32 v11, vcc, v12, v11
	v_addc_co_u32_e32 v12, vcc, 0, v13, vcc
	v_add_co_u32_e32 v5, vcc, v5, v11
	v_addc_co_u32_e32 v10, vcc, v10, v12, vcc
	v_mul_lo_u32 v11, s4, v10
	v_mul_hi_u32 v12, s4, v5
	v_add_u32_e32 v11, v12, v11
	v_mul_lo_u32 v12, s5, v5
	v_add_u32_e32 v11, v11, v12
	v_mul_lo_u32 v13, s4, v5
	v_mul_hi_u32 v16, v10, v13
	v_mul_lo_u32 v17, v10, v13
	v_mul_lo_u32 v19, v5, v11
	v_mul_hi_u32 v13, v5, v13
	v_mul_hi_u32 v18, v5, v11
	v_add_co_u32_e32 v13, vcc, v13, v19
	v_addc_co_u32_e32 v18, vcc, 0, v18, vcc
	v_add_co_u32_e32 v13, vcc, v13, v17
	v_mul_hi_u32 v12, v10, v11
	v_addc_co_u32_e32 v13, vcc, v18, v16, vcc
	v_addc_co_u32_e32 v12, vcc, 0, v12, vcc
	v_mul_lo_u32 v11, v10, v11
	v_add_co_u32_e32 v11, vcc, v13, v11
	v_addc_co_u32_e32 v12, vcc, 0, v12, vcc
	v_add_co_u32_e32 v5, vcc, v5, v11
	v_addc_co_u32_e32 v10, vcc, v10, v12, vcc
	v_ashrrev_i32_e32 v12, 31, v9
	v_add_co_u32_e32 v8, vcc, v8, v12
	v_addc_co_u32_e32 v9, vcc, v9, v12, vcc
	v_xor_b32_e32 v16, v8, v12
	v_xor_b32_e32 v13, v9, v12
	v_mad_u64_u32 v[8:9], s[4:5], v16, v10, 0
	v_mul_hi_u32 v11, v16, v5
	v_add_co_u32_e32 v17, vcc, v11, v8
	v_addc_co_u32_e32 v18, vcc, 0, v9, vcc
	v_mad_u64_u32 v[8:9], s[4:5], v13, v10, 0
	v_mad_u64_u32 v[10:11], s[4:5], v13, v5, 0
	v_add_co_u32_e32 v5, vcc, v17, v10
	v_addc_co_u32_e32 v5, vcc, v18, v11, vcc
	v_addc_co_u32_e32 v9, vcc, 0, v9, vcc
	v_add_co_u32_e32 v5, vcc, v5, v8
	v_addc_co_u32_e32 v8, vcc, 0, v9, vcc
	v_mul_lo_u32 v10, s43, v5
	v_mul_lo_u32 v11, s42, v8
	v_mad_u64_u32 v[8:9], s[4:5], s42, v5, 0
	v_add3_u32 v9, v9, v11, v10
	v_sub_u32_e32 v10, v13, v9
	v_mov_b32_e32 v11, s43
	v_sub_co_u32_e32 v8, vcc, v16, v8
	v_subb_co_u32_e64 v10, s[4:5], v10, v11, vcc
	v_subrev_co_u32_e64 v11, s[4:5], s42, v8
	v_subbrev_co_u32_e64 v10, s[4:5], 0, v10, s[4:5]
	v_cmp_le_u32_e64 s[4:5], s43, v10
	v_subb_co_u32_e32 v9, vcc, v13, v9, vcc
	v_cndmask_b32_e64 v16, 0, -1, s[4:5]
	v_cmp_le_u32_e64 s[4:5], s42, v11
	v_cmp_le_u32_e32 vcc, s43, v9
	v_cndmask_b32_e64 v11, 0, -1, s[4:5]
	v_cmp_eq_u32_e64 s[4:5], s43, v10
	v_cndmask_b32_e64 v13, 0, -1, vcc
	v_cmp_le_u32_e32 vcc, s42, v8
	v_cndmask_b32_e64 v10, v16, v11, s[4:5]
	v_cndmask_b32_e64 v8, 0, -1, vcc
	v_cmp_eq_u32_e32 vcc, s43, v9
	v_add_co_u32_e64 v11, s[4:5], 2, v5
	v_add_co_u32_e64 v16, s[4:5], 1, v5
	v_cndmask_b32_e32 v8, v13, v8, vcc
	v_cmp_ne_u32_e32 vcc, 0, v10
	v_cndmask_b32_e32 v9, v16, v11, vcc
	v_cmp_ne_u32_e32 vcc, 0, v8
	v_cndmask_b32_e32 v5, v5, v9, vcc
	v_xor_b32_e32 v8, s40, v12
	v_xor_b32_e32 v5, v5, v8
	v_sub_co_u32_e32 v10, vcc, v5, v8
                                        ; implicit-def: $vgpr8_vgpr9
.LBB40_20:                              ;   in Loop: Header=BB40_10 Depth=1
	s_andn2_saveexec_b64 s[4:5], s[38:39]
	s_cbranch_execz .LBB40_8
; %bb.21:                               ;   in Loop: Header=BB40_10 Depth=1
	v_cvt_f32_u32_e32 v5, s33
	s_sub_i32 s38, 0, s33
	v_rcp_iflag_f32_e32 v5, v5
	v_mul_f32_e32 v5, 0x4f7ffffe, v5
	v_cvt_u32_f32_e32 v5, v5
	v_mul_lo_u32 v9, s38, v5
	v_mul_hi_u32 v9, v5, v9
	v_add_u32_e32 v5, v5, v9
	v_mul_hi_u32 v5, v8, v5
	v_mul_lo_u32 v9, v5, s33
	v_sub_u32_e32 v8, v8, v9
	v_add_u32_e32 v10, 1, v5
	v_subrev_u32_e32 v9, s33, v8
	v_cmp_le_u32_e32 vcc, s33, v8
	v_cndmask_b32_e32 v8, v8, v9, vcc
	v_cndmask_b32_e32 v5, v5, v10, vcc
	v_add_u32_e32 v9, 1, v5
	v_cmp_le_u32_e32 vcc, s33, v8
	v_cndmask_b32_e32 v10, v5, v9, vcc
	s_branch .LBB40_8
.LBB40_22:
	s_or_b64 exec, exec, s[6:7]
; %bb.23:
	s_waitcnt lgkmcnt(0)
	s_barrier
	s_and_saveexec_b64 s[2:3], s[0:1]
	s_cbranch_execz .LBB40_26
; %bb.24:
	v_mad_u64_u32 v[4:5], s[0:1], s22, v0, 0
	v_mov_b32_e32 v6, v5
	v_and_b32_e32 v2, 0xffff, v7
	v_mad_u64_u32 v[6:7], s[0:1], s23, v0, v[6:7]
	v_mov_b32_e32 v5, v6
	v_mad_u64_u32 v[6:7], s[0:1], s22, v2, 0
	v_mov_b32_e32 v8, v7
	v_lshlrev_b64 v[4:5], 3, v[4:5]
	v_mad_u64_u32 v[8:9], s[0:1], s23, v2, v[8:9]
	v_mov_b32_e32 v3, s17
	v_add_co_u32_e32 v4, vcc, s16, v4
	v_mov_b32_e32 v7, v8
	v_addc_co_u32_e32 v5, vcc, v3, v5, vcc
	v_lshlrev_b64 v[6:7], 3, v[6:7]
	v_lshlrev_b32_e32 v3, 3, v15
	s_mov_b64 s[0:1], 0
.LBB40_25:                              ; =>This Inner Loop Header: Depth=1
	ds_read_b64 v[8:9], v14
	v_add_co_u32_e32 v0, vcc, v0, v2
	v_addc_co_u32_e32 v1, vcc, 0, v1, vcc
	s_waitcnt lgkmcnt(0)
	global_atomic_add_x2 v[4:5], v[8:9], off
	v_cmp_le_i64_e32 vcc, s[18:19], v[0:1]
	s_or_b64 s[0:1], vcc, s[0:1]
	v_add_co_u32_e32 v4, vcc, v4, v6
	v_add_u32_e32 v14, v14, v3
	v_addc_co_u32_e32 v5, vcc, v5, v7, vcc
	s_andn2_b64 exec, exec, s[0:1]
	s_cbranch_execnz .LBB40_25
.LBB40_26:
	s_endpgm
	.section	.rodata,"a",@progbits
	.p2align	6, 0x0
	.amdhsa_kernel _ZN2at4cuda17kernelHistogram1DIlllLi1ELi2ELin1ELNS0_23CUDAHistogramMemoryTypeE0EZNS0_21CUDA_tensor_histogramIllLb0EEEbNS_6TensorES4_S4_lNS_14AccumulateTypeIT0_Lb1EE4typeES8_NS0_13TensorArgTypeES9_S9_EUllE_EEvNS0_6detail10TensorInfoIT_T1_EESF_NSC_IKS6_SE_EElS8_S8_SE_T6_
		.amdhsa_group_segment_fixed_size 0
		.amdhsa_private_segment_fixed_size 0
		.amdhsa_kernarg_size 1952
		.amdhsa_user_sgpr_count 6
		.amdhsa_user_sgpr_private_segment_buffer 1
		.amdhsa_user_sgpr_dispatch_ptr 0
		.amdhsa_user_sgpr_queue_ptr 0
		.amdhsa_user_sgpr_kernarg_segment_ptr 1
		.amdhsa_user_sgpr_dispatch_id 0
		.amdhsa_user_sgpr_flat_scratch_init 0
		.amdhsa_user_sgpr_kernarg_preload_length 0
		.amdhsa_user_sgpr_kernarg_preload_offset 0
		.amdhsa_user_sgpr_private_segment_size 0
		.amdhsa_uses_dynamic_stack 0
		.amdhsa_system_sgpr_private_segment_wavefront_offset 0
		.amdhsa_system_sgpr_workgroup_id_x 1
		.amdhsa_system_sgpr_workgroup_id_y 0
		.amdhsa_system_sgpr_workgroup_id_z 0
		.amdhsa_system_sgpr_workgroup_info 0
		.amdhsa_system_vgpr_workitem_id 0
		.amdhsa_next_free_vgpr 24
		.amdhsa_next_free_sgpr 49
		.amdhsa_accum_offset 24
		.amdhsa_reserve_vcc 1
		.amdhsa_reserve_flat_scratch 0
		.amdhsa_float_round_mode_32 0
		.amdhsa_float_round_mode_16_64 0
		.amdhsa_float_denorm_mode_32 3
		.amdhsa_float_denorm_mode_16_64 3
		.amdhsa_dx10_clamp 1
		.amdhsa_ieee_mode 1
		.amdhsa_fp16_overflow 0
		.amdhsa_tg_split 0
		.amdhsa_exception_fp_ieee_invalid_op 0
		.amdhsa_exception_fp_denorm_src 0
		.amdhsa_exception_fp_ieee_div_zero 0
		.amdhsa_exception_fp_ieee_overflow 0
		.amdhsa_exception_fp_ieee_underflow 0
		.amdhsa_exception_fp_ieee_inexact 0
		.amdhsa_exception_int_div_zero 0
	.end_amdhsa_kernel
	.section	.text._ZN2at4cuda17kernelHistogram1DIlllLi1ELi2ELin1ELNS0_23CUDAHistogramMemoryTypeE0EZNS0_21CUDA_tensor_histogramIllLb0EEEbNS_6TensorES4_S4_lNS_14AccumulateTypeIT0_Lb1EE4typeES8_NS0_13TensorArgTypeES9_S9_EUllE_EEvNS0_6detail10TensorInfoIT_T1_EESF_NSC_IKS6_SE_EElS8_S8_SE_T6_,"axG",@progbits,_ZN2at4cuda17kernelHistogram1DIlllLi1ELi2ELin1ELNS0_23CUDAHistogramMemoryTypeE0EZNS0_21CUDA_tensor_histogramIllLb0EEEbNS_6TensorES4_S4_lNS_14AccumulateTypeIT0_Lb1EE4typeES8_NS0_13TensorArgTypeES9_S9_EUllE_EEvNS0_6detail10TensorInfoIT_T1_EESF_NSC_IKS6_SE_EElS8_S8_SE_T6_,comdat
.Lfunc_end40:
	.size	_ZN2at4cuda17kernelHistogram1DIlllLi1ELi2ELin1ELNS0_23CUDAHistogramMemoryTypeE0EZNS0_21CUDA_tensor_histogramIllLb0EEEbNS_6TensorES4_S4_lNS_14AccumulateTypeIT0_Lb1EE4typeES8_NS0_13TensorArgTypeES9_S9_EUllE_EEvNS0_6detail10TensorInfoIT_T1_EESF_NSC_IKS6_SE_EElS8_S8_SE_T6_, .Lfunc_end40-_ZN2at4cuda17kernelHistogram1DIlllLi1ELi2ELin1ELNS0_23CUDAHistogramMemoryTypeE0EZNS0_21CUDA_tensor_histogramIllLb0EEEbNS_6TensorES4_S4_lNS_14AccumulateTypeIT0_Lb1EE4typeES8_NS0_13TensorArgTypeES9_S9_EUllE_EEvNS0_6detail10TensorInfoIT_T1_EESF_NSC_IKS6_SE_EElS8_S8_SE_T6_
                                        ; -- End function
	.section	.AMDGPU.csdata,"",@progbits
; Kernel info:
; codeLenInByte = 2576
; NumSgprs: 53
; NumVgprs: 24
; NumAgprs: 0
; TotalNumVgprs: 24
; ScratchSize: 0
; MemoryBound: 0
; FloatMode: 240
; IeeeMode: 1
; LDSByteSize: 0 bytes/workgroup (compile time only)
; SGPRBlocks: 6
; VGPRBlocks: 2
; NumSGPRsForWavesPerEU: 53
; NumVGPRsForWavesPerEU: 24
; AccumOffset: 24
; Occupancy: 8
; WaveLimiterHint : 1
; COMPUTE_PGM_RSRC2:SCRATCH_EN: 0
; COMPUTE_PGM_RSRC2:USER_SGPR: 6
; COMPUTE_PGM_RSRC2:TRAP_HANDLER: 0
; COMPUTE_PGM_RSRC2:TGID_X_EN: 1
; COMPUTE_PGM_RSRC2:TGID_Y_EN: 0
; COMPUTE_PGM_RSRC2:TGID_Z_EN: 0
; COMPUTE_PGM_RSRC2:TIDIG_COMP_CNT: 0
; COMPUTE_PGM_RSRC3_GFX90A:ACCUM_OFFSET: 5
; COMPUTE_PGM_RSRC3_GFX90A:TG_SPLIT: 0
	.section	.text._ZN2at4cuda17kernelHistogram1DIlllLi1ELi2ELin1ELNS0_23CUDAHistogramMemoryTypeE1EZNS0_21CUDA_tensor_histogramIllLb0EEEbNS_6TensorES4_S4_lNS_14AccumulateTypeIT0_Lb1EE4typeES8_NS0_13TensorArgTypeES9_S9_EUllE_EEvNS0_6detail10TensorInfoIT_T1_EESF_NSC_IKS6_SE_EElS8_S8_SE_T6_,"axG",@progbits,_ZN2at4cuda17kernelHistogram1DIlllLi1ELi2ELin1ELNS0_23CUDAHistogramMemoryTypeE1EZNS0_21CUDA_tensor_histogramIllLb0EEEbNS_6TensorES4_S4_lNS_14AccumulateTypeIT0_Lb1EE4typeES8_NS0_13TensorArgTypeES9_S9_EUllE_EEvNS0_6detail10TensorInfoIT_T1_EESF_NSC_IKS6_SE_EElS8_S8_SE_T6_,comdat
	.protected	_ZN2at4cuda17kernelHistogram1DIlllLi1ELi2ELin1ELNS0_23CUDAHistogramMemoryTypeE1EZNS0_21CUDA_tensor_histogramIllLb0EEEbNS_6TensorES4_S4_lNS_14AccumulateTypeIT0_Lb1EE4typeES8_NS0_13TensorArgTypeES9_S9_EUllE_EEvNS0_6detail10TensorInfoIT_T1_EESF_NSC_IKS6_SE_EElS8_S8_SE_T6_ ; -- Begin function _ZN2at4cuda17kernelHistogram1DIlllLi1ELi2ELin1ELNS0_23CUDAHistogramMemoryTypeE1EZNS0_21CUDA_tensor_histogramIllLb0EEEbNS_6TensorES4_S4_lNS_14AccumulateTypeIT0_Lb1EE4typeES8_NS0_13TensorArgTypeES9_S9_EUllE_EEvNS0_6detail10TensorInfoIT_T1_EESF_NSC_IKS6_SE_EElS8_S8_SE_T6_
	.globl	_ZN2at4cuda17kernelHistogram1DIlllLi1ELi2ELin1ELNS0_23CUDAHistogramMemoryTypeE1EZNS0_21CUDA_tensor_histogramIllLb0EEEbNS_6TensorES4_S4_lNS_14AccumulateTypeIT0_Lb1EE4typeES8_NS0_13TensorArgTypeES9_S9_EUllE_EEvNS0_6detail10TensorInfoIT_T1_EESF_NSC_IKS6_SE_EElS8_S8_SE_T6_
	.p2align	8
	.type	_ZN2at4cuda17kernelHistogram1DIlllLi1ELi2ELin1ELNS0_23CUDAHistogramMemoryTypeE1EZNS0_21CUDA_tensor_histogramIllLb0EEEbNS_6TensorES4_S4_lNS_14AccumulateTypeIT0_Lb1EE4typeES8_NS0_13TensorArgTypeES9_S9_EUllE_EEvNS0_6detail10TensorInfoIT_T1_EESF_NSC_IKS6_SE_EElS8_S8_SE_T6_,@function
_ZN2at4cuda17kernelHistogram1DIlllLi1ELi2ELin1ELNS0_23CUDAHistogramMemoryTypeE1EZNS0_21CUDA_tensor_histogramIllLb0EEEbNS_6TensorES4_S4_lNS_14AccumulateTypeIT0_Lb1EE4typeES8_NS0_13TensorArgTypeES9_S9_EUllE_EEvNS0_6detail10TensorInfoIT_T1_EESF_NSC_IKS6_SE_EElS8_S8_SE_T6_: ; @_ZN2at4cuda17kernelHistogram1DIlllLi1ELi2ELin1ELNS0_23CUDAHistogramMemoryTypeE1EZNS0_21CUDA_tensor_histogramIllLb0EEEbNS_6TensorES4_S4_lNS_14AccumulateTypeIT0_Lb1EE4typeES8_NS0_13TensorArgTypeES9_S9_EUllE_EEvNS0_6detail10TensorInfoIT_T1_EESF_NSC_IKS6_SE_EElS8_S8_SE_T6_
; %bb.0:
	s_load_dword s2, s[4:5], 0x6ac
	s_load_dwordx8 s[8:15], s[4:5], 0x4e0
	s_add_u32 s0, s4, 0x6a0
	s_addc_u32 s1, s5, 0
	v_mov_b32_e32 v2, 0
	s_waitcnt lgkmcnt(0)
	s_and_b32 s2, s2, 0xffff
	s_mul_i32 s6, s6, s2
	v_add_u32_e32 v0, s6, v0
	v_mov_b32_e32 v1, v2
	v_cmp_gt_i64_e32 vcc, s[14:15], v[0:1]
	s_and_saveexec_b64 s[6:7], vcc
	s_cbranch_execz .LBB41_16
; %bb.1:
	s_load_dwordx2 s[6:7], s[4:5], 0x5d0
	s_load_dwordx2 s[16:17], s[4:5], 0x500
	s_load_dword s3, s[4:5], 0x4d8
	s_load_dwordx2 s[18:19], s[4:5], 0x0
	s_load_dwordx2 s[20:21], s[4:5], 0xd0
	s_load_dword s28, s[0:1], 0x0
	s_add_u32 s26, s4, 0x340
	s_addc_u32 s27, s5, 0
	s_mov_b32 s42, 0
	s_waitcnt lgkmcnt(0)
	s_cmp_gt_i32 s3, 1
	s_cselect_b64 s[0:1], -1, 0
	s_sub_u32 s33, s12, s10
	s_subb_u32 s40, s13, s11
	s_mul_i32 s41, s28, s2
	s_add_i32 s43, s3, 1
	s_add_i32 s2, s3, -1
	s_mov_b32 s3, s42
	s_load_dwordx2 s[22:23], s[4:5], 0x410
	s_load_dwordx2 s[24:25], s[4:5], 0x340
	s_lshl_b64 s[2:3], s[2:3], 3
	s_add_u32 s2, s2, s26
	s_addc_u32 s3, s3, s27
	s_add_u32 s4, s2, 8
	v_cndmask_b32_e64 v3, 0, 1, s[0:1]
	s_addc_u32 s5, s3, 0
	s_mov_b64 s[26:27], 0
	v_cmp_ne_u32_e64 s[0:1], 1, v3
	s_branch .LBB41_4
.LBB41_2:                               ;   in Loop: Header=BB41_4 Depth=1
	s_or_b64 exec, exec, s[2:3]
	v_mul_lo_u32 v3, v1, s6
	v_mul_lo_u32 v7, v0, s7
	v_mad_u64_u32 v[4:5], s[2:3], v0, s6, 0
	v_add3_u32 v5, v5, v7, v3
	v_lshlrev_b64 v[4:5], 3, v[4:5]
	v_mov_b32_e32 v3, s17
	v_add_co_u32_e32 v4, vcc, s16, v4
	v_addc_co_u32_e32 v5, vcc, v3, v5, vcc
	global_load_dwordx2 v[4:5], v[4:5], off
	v_ashrrev_i32_e32 v7, 31, v6
	v_cmp_eq_u64_e32 vcc, s[8:9], v[6:7]
	v_cndmask_b32_e64 v3, 0, 1, vcc
	v_sub_co_u32_e32 v3, vcc, v6, v3
	v_subbrev_co_u32_e32 v6, vcc, 0, v7, vcc
	v_mul_lo_u32 v8, v6, s20
	v_mul_lo_u32 v9, v3, s21
	v_mad_u64_u32 v[6:7], s[2:3], v3, s20, 0
	v_add3_u32 v7, v7, v9, v8
	v_lshlrev_b64 v[6:7], 3, v[6:7]
	v_mov_b32_e32 v3, s19
	v_add_co_u32_e32 v6, vcc, s18, v6
	v_addc_co_u32_e32 v7, vcc, v3, v7, vcc
	s_waitcnt vmcnt(0)
	global_atomic_add_x2 v[6:7], v[4:5], off
.LBB41_3:                               ;   in Loop: Header=BB41_4 Depth=1
	s_or_b64 exec, exec, s[28:29]
	v_mov_b32_e32 v3, s42
	v_add_co_u32_e32 v0, vcc, s41, v0
	v_addc_co_u32_e32 v1, vcc, v1, v3, vcc
	v_cmp_le_i64_e32 vcc, s[14:15], v[0:1]
	s_or_b64 s[26:27], vcc, s[26:27]
	s_andn2_b64 exec, exec, s[26:27]
	s_cbranch_execz .LBB41_16
.LBB41_4:                               ; =>This Loop Header: Depth=1
                                        ;     Child Loop BB41_5 Depth 2
	s_and_b64 vcc, exec, s[0:1]
	v_pk_mov_b32 v[4:5], 0, 0
	s_mov_b64 s[28:29], s[4:5]
	s_mov_b32 s44, s43
	v_pk_mov_b32 v[6:7], v[0:1], v[0:1] op_sel:[0,1]
	v_pk_mov_b32 v[8:9], v[0:1], v[0:1] op_sel:[0,1]
	s_cbranch_vccnz .LBB41_11
.LBB41_5:                               ;   Parent Loop BB41_4 Depth=1
                                        ; =>  This Inner Loop Header: Depth=2
	s_load_dwordx2 s[30:31], s[28:29], 0x0
                                        ; implicit-def: $vgpr8_vgpr9
	s_waitcnt lgkmcnt(0)
	v_or_b32_e32 v3, s31, v7
	v_cmp_ne_u64_e32 vcc, 0, v[2:3]
	s_and_saveexec_b64 s[2:3], vcc
	s_xor_b64 s[34:35], exec, s[2:3]
	s_cbranch_execz .LBB41_7
; %bb.6:                                ;   in Loop: Header=BB41_5 Depth=2
	s_ashr_i32 s36, s31, 31
	s_add_u32 s2, s30, s36
	s_mov_b32 s37, s36
	s_addc_u32 s3, s31, s36
	s_xor_b64 s[38:39], s[2:3], s[36:37]
	v_cvt_f32_u32_e32 v3, s38
	v_cvt_f32_u32_e32 v8, s39
	s_sub_u32 s2, 0, s38
	s_subb_u32 s3, 0, s39
	v_mac_f32_e32 v3, 0x4f800000, v8
	v_rcp_f32_e32 v3, v3
	v_mul_f32_e32 v3, 0x5f7ffffc, v3
	v_mul_f32_e32 v8, 0x2f800000, v3
	v_trunc_f32_e32 v8, v8
	v_mac_f32_e32 v3, 0xcf800000, v8
	v_cvt_u32_f32_e32 v8, v8
	v_cvt_u32_f32_e32 v3, v3
	v_mul_lo_u32 v9, s2, v8
	v_mul_hi_u32 v11, s2, v3
	v_mul_lo_u32 v10, s3, v3
	v_add_u32_e32 v9, v11, v9
	v_mul_lo_u32 v12, s2, v3
	v_add_u32_e32 v9, v9, v10
	v_mul_lo_u32 v11, v3, v9
	v_mul_hi_u32 v13, v3, v12
	v_mul_hi_u32 v10, v3, v9
	v_add_co_u32_e32 v11, vcc, v13, v11
	v_addc_co_u32_e32 v10, vcc, 0, v10, vcc
	v_mul_hi_u32 v14, v8, v12
	v_mul_lo_u32 v12, v8, v12
	v_add_co_u32_e32 v11, vcc, v11, v12
	v_mul_hi_u32 v13, v8, v9
	v_addc_co_u32_e32 v10, vcc, v10, v14, vcc
	v_addc_co_u32_e32 v11, vcc, 0, v13, vcc
	v_mul_lo_u32 v9, v8, v9
	v_add_co_u32_e32 v9, vcc, v10, v9
	v_addc_co_u32_e32 v10, vcc, 0, v11, vcc
	v_add_co_u32_e32 v3, vcc, v3, v9
	v_addc_co_u32_e32 v8, vcc, v8, v10, vcc
	v_mul_lo_u32 v9, s2, v8
	v_mul_hi_u32 v10, s2, v3
	v_add_u32_e32 v9, v10, v9
	v_mul_lo_u32 v10, s3, v3
	v_add_u32_e32 v9, v9, v10
	v_mul_lo_u32 v11, s2, v3
	v_mul_hi_u32 v12, v8, v11
	v_mul_lo_u32 v13, v8, v11
	v_mul_lo_u32 v15, v3, v9
	v_mul_hi_u32 v11, v3, v11
	v_mul_hi_u32 v14, v3, v9
	v_add_co_u32_e32 v11, vcc, v11, v15
	v_addc_co_u32_e32 v14, vcc, 0, v14, vcc
	v_add_co_u32_e32 v11, vcc, v11, v13
	v_mul_hi_u32 v10, v8, v9
	v_addc_co_u32_e32 v11, vcc, v14, v12, vcc
	v_addc_co_u32_e32 v10, vcc, 0, v10, vcc
	v_mul_lo_u32 v9, v8, v9
	v_add_co_u32_e32 v9, vcc, v11, v9
	v_addc_co_u32_e32 v10, vcc, 0, v10, vcc
	v_add_co_u32_e32 v3, vcc, v3, v9
	v_addc_co_u32_e32 v10, vcc, v8, v10, vcc
	v_ashrrev_i32_e32 v12, 31, v7
	v_add_co_u32_e32 v8, vcc, v6, v12
	v_addc_co_u32_e32 v9, vcc, v7, v12, vcc
	v_xor_b32_e32 v14, v8, v12
	v_xor_b32_e32 v13, v9, v12
	v_mad_u64_u32 v[8:9], s[2:3], v14, v10, 0
	v_mul_hi_u32 v11, v14, v3
	v_add_co_u32_e32 v15, vcc, v11, v8
	v_addc_co_u32_e32 v16, vcc, 0, v9, vcc
	v_mad_u64_u32 v[8:9], s[2:3], v13, v10, 0
	v_mad_u64_u32 v[10:11], s[2:3], v13, v3, 0
	v_add_co_u32_e32 v3, vcc, v15, v10
	v_addc_co_u32_e32 v3, vcc, v16, v11, vcc
	v_addc_co_u32_e32 v9, vcc, 0, v9, vcc
	v_add_co_u32_e32 v3, vcc, v3, v8
	v_addc_co_u32_e32 v10, vcc, 0, v9, vcc
	v_mul_lo_u32 v11, s39, v3
	v_mul_lo_u32 v15, s38, v10
	v_mad_u64_u32 v[8:9], s[2:3], s38, v3, 0
	v_add3_u32 v9, v9, v15, v11
	v_sub_u32_e32 v11, v13, v9
	v_mov_b32_e32 v15, s39
	v_sub_co_u32_e32 v8, vcc, v14, v8
	v_subb_co_u32_e64 v11, s[2:3], v11, v15, vcc
	v_subrev_co_u32_e64 v14, s[2:3], s38, v8
	v_subbrev_co_u32_e64 v11, s[2:3], 0, v11, s[2:3]
	v_cmp_le_u32_e64 s[2:3], s39, v11
	v_cndmask_b32_e64 v15, 0, -1, s[2:3]
	v_cmp_le_u32_e64 s[2:3], s38, v14
	v_cndmask_b32_e64 v14, 0, -1, s[2:3]
	v_cmp_eq_u32_e64 s[2:3], s39, v11
	v_cndmask_b32_e64 v11, v15, v14, s[2:3]
	v_add_co_u32_e64 v14, s[2:3], 2, v3
	v_subb_co_u32_e32 v9, vcc, v13, v9, vcc
	v_addc_co_u32_e64 v15, s[2:3], 0, v10, s[2:3]
	v_cmp_le_u32_e32 vcc, s39, v9
	v_add_co_u32_e64 v16, s[2:3], 1, v3
	v_cndmask_b32_e64 v13, 0, -1, vcc
	v_cmp_le_u32_e32 vcc, s38, v8
	v_addc_co_u32_e64 v17, s[2:3], 0, v10, s[2:3]
	v_cndmask_b32_e64 v8, 0, -1, vcc
	v_cmp_eq_u32_e32 vcc, s39, v9
	v_cmp_ne_u32_e64 s[2:3], 0, v11
	v_cndmask_b32_e32 v8, v13, v8, vcc
	v_cmp_ne_u32_e32 vcc, 0, v8
	v_cndmask_b32_e64 v9, v16, v14, s[2:3]
	v_cndmask_b32_e64 v11, v17, v15, s[2:3]
	v_cndmask_b32_e32 v3, v3, v9, vcc
	v_xor_b32_e32 v9, s36, v12
	v_cndmask_b32_e32 v8, v10, v11, vcc
	v_xor_b32_e32 v3, v3, v9
	v_xor_b32_e32 v10, v8, v9
	v_sub_co_u32_e32 v8, vcc, v3, v9
	v_subb_co_u32_e32 v9, vcc, v10, v9, vcc
.LBB41_7:                               ;   in Loop: Header=BB41_5 Depth=2
	s_andn2_saveexec_b64 s[2:3], s[34:35]
	s_cbranch_execz .LBB41_9
; %bb.8:                                ;   in Loop: Header=BB41_5 Depth=2
	v_cvt_f32_u32_e32 v3, s30
	s_sub_i32 s34, 0, s30
	v_rcp_iflag_f32_e32 v3, v3
	v_mul_f32_e32 v3, 0x4f7ffffe, v3
	v_cvt_u32_f32_e32 v3, v3
	v_mul_lo_u32 v8, s34, v3
	v_mul_hi_u32 v8, v3, v8
	v_add_u32_e32 v3, v3, v8
	v_mul_hi_u32 v3, v6, v3
	v_mul_lo_u32 v8, v3, s30
	v_sub_u32_e32 v8, v6, v8
	v_add_u32_e32 v9, 1, v3
	v_subrev_u32_e32 v10, s30, v8
	v_cmp_le_u32_e32 vcc, s30, v8
	v_cndmask_b32_e32 v8, v8, v10, vcc
	v_cndmask_b32_e32 v3, v3, v9, vcc
	v_add_u32_e32 v9, 1, v3
	v_cmp_le_u32_e32 vcc, s30, v8
	v_cndmask_b32_e32 v8, v3, v9, vcc
	v_mov_b32_e32 v9, v2
.LBB41_9:                               ;   in Loop: Header=BB41_5 Depth=2
	s_or_b64 exec, exec, s[2:3]
	v_mad_u64_u32 v[10:11], s[2:3], v8, s30, 0
	s_load_dwordx2 s[2:3], s[28:29], 0xc8
	v_mul_lo_u32 v3, v9, s30
	v_mul_lo_u32 v12, v8, s31
	v_add3_u32 v3, v11, v12, v3
	v_sub_co_u32_e32 v6, vcc, v6, v10
	s_add_i32 s44, s44, -1
	v_subb_co_u32_e32 v3, vcc, v7, v3, vcc
	s_add_u32 s28, s28, -8
	s_waitcnt lgkmcnt(0)
	v_mul_lo_u32 v3, s2, v3
	v_mul_lo_u32 v7, s3, v6
	v_mad_u64_u32 v[4:5], s[2:3], s2, v6, v[4:5]
	s_addc_u32 s29, s29, -1
	s_cmp_gt_u32 s44, 2
	v_add3_u32 v5, v7, v5, v3
	s_cbranch_scc0 .LBB41_11
; %bb.10:                               ;   in Loop: Header=BB41_5 Depth=2
	v_pk_mov_b32 v[6:7], v[8:9], v[8:9] op_sel:[0,1]
	s_branch .LBB41_5
.LBB41_11:                              ;   in Loop: Header=BB41_4 Depth=1
	s_waitcnt lgkmcnt(0)
	v_mul_lo_u32 v3, s23, v8
	v_mul_lo_u32 v9, s22, v9
	v_mad_u64_u32 v[6:7], s[2:3], s22, v8, 0
	v_add3_u32 v7, v7, v9, v3
	v_lshlrev_b64 v[6:7], 3, v[6:7]
	v_mov_b32_e32 v3, s25
	v_add_co_u32_e32 v6, vcc, s24, v6
	v_addc_co_u32_e32 v3, vcc, v3, v7, vcc
	v_lshlrev_b64 v[4:5], 3, v[4:5]
	v_add_co_u32_e32 v4, vcc, v6, v4
	v_addc_co_u32_e32 v5, vcc, v3, v5, vcc
	global_load_dwordx2 v[4:5], v[4:5], off
	s_waitcnt vmcnt(0)
	v_cmp_le_i64_e32 vcc, s[10:11], v[4:5]
	v_cmp_ge_i64_e64 s[2:3], s[12:13], v[4:5]
	s_and_b64 s[2:3], vcc, s[2:3]
	s_and_saveexec_b64 s[28:29], s[2:3]
	s_cbranch_execz .LBB41_3
; %bb.12:                               ;   in Loop: Header=BB41_4 Depth=1
	v_mov_b32_e32 v3, s11
	v_subrev_co_u32_e32 v4, vcc, s10, v4
	v_subb_co_u32_e32 v3, vcc, v5, v3, vcc
	v_mul_lo_u32 v3, v3, s8
	v_mul_lo_u32 v6, v4, s9
	v_mad_u64_u32 v[4:5], s[2:3], v4, s8, 0
	v_add3_u32 v5, v5, v6, v3
	v_or_b32_e32 v3, s40, v5
	v_cmp_ne_u64_e32 vcc, 0, v[2:3]
                                        ; implicit-def: $vgpr6_vgpr7
	s_and_saveexec_b64 s[2:3], vcc
	s_xor_b64 s[30:31], exec, s[2:3]
	s_cbranch_execz .LBB41_14
; %bb.13:                               ;   in Loop: Header=BB41_4 Depth=1
	s_ashr_i32 s34, s40, 31
	s_add_u32 s2, s33, s34
	s_mov_b32 s35, s34
	s_addc_u32 s3, s40, s34
	s_xor_b64 s[36:37], s[2:3], s[34:35]
	v_cvt_f32_u32_e32 v3, s36
	v_cvt_f32_u32_e32 v6, s37
	s_sub_u32 s2, 0, s36
	s_subb_u32 s3, 0, s37
	v_mac_f32_e32 v3, 0x4f800000, v6
	v_rcp_f32_e32 v3, v3
	v_mul_f32_e32 v3, 0x5f7ffffc, v3
	v_mul_f32_e32 v6, 0x2f800000, v3
	v_trunc_f32_e32 v6, v6
	v_mac_f32_e32 v3, 0xcf800000, v6
	v_cvt_u32_f32_e32 v6, v6
	v_cvt_u32_f32_e32 v3, v3
	v_mul_lo_u32 v7, s2, v6
	v_mul_hi_u32 v9, s2, v3
	v_mul_lo_u32 v8, s3, v3
	v_add_u32_e32 v7, v9, v7
	v_mul_lo_u32 v10, s2, v3
	v_add_u32_e32 v7, v7, v8
	v_mul_lo_u32 v9, v3, v7
	v_mul_hi_u32 v11, v3, v10
	v_mul_hi_u32 v8, v3, v7
	v_add_co_u32_e32 v9, vcc, v11, v9
	v_addc_co_u32_e32 v8, vcc, 0, v8, vcc
	v_mul_hi_u32 v12, v6, v10
	v_mul_lo_u32 v10, v6, v10
	v_add_co_u32_e32 v9, vcc, v9, v10
	v_mul_hi_u32 v11, v6, v7
	v_addc_co_u32_e32 v8, vcc, v8, v12, vcc
	v_addc_co_u32_e32 v9, vcc, 0, v11, vcc
	v_mul_lo_u32 v7, v6, v7
	v_add_co_u32_e32 v7, vcc, v8, v7
	v_addc_co_u32_e32 v8, vcc, 0, v9, vcc
	v_add_co_u32_e32 v3, vcc, v3, v7
	v_addc_co_u32_e32 v6, vcc, v6, v8, vcc
	v_mul_lo_u32 v7, s2, v6
	v_mul_hi_u32 v8, s2, v3
	v_add_u32_e32 v7, v8, v7
	v_mul_lo_u32 v8, s3, v3
	v_add_u32_e32 v7, v7, v8
	v_mul_lo_u32 v9, s2, v3
	v_mul_hi_u32 v10, v6, v9
	v_mul_lo_u32 v11, v6, v9
	v_mul_lo_u32 v13, v3, v7
	v_mul_hi_u32 v9, v3, v9
	v_mul_hi_u32 v12, v3, v7
	v_add_co_u32_e32 v9, vcc, v9, v13
	v_addc_co_u32_e32 v12, vcc, 0, v12, vcc
	v_add_co_u32_e32 v9, vcc, v9, v11
	v_mul_hi_u32 v8, v6, v7
	v_addc_co_u32_e32 v9, vcc, v12, v10, vcc
	v_addc_co_u32_e32 v8, vcc, 0, v8, vcc
	v_mul_lo_u32 v7, v6, v7
	v_add_co_u32_e32 v7, vcc, v9, v7
	v_addc_co_u32_e32 v8, vcc, 0, v8, vcc
	v_add_co_u32_e32 v3, vcc, v3, v7
	v_addc_co_u32_e32 v6, vcc, v6, v8, vcc
	v_ashrrev_i32_e32 v8, 31, v5
	v_add_co_u32_e32 v4, vcc, v4, v8
	v_addc_co_u32_e32 v5, vcc, v5, v8, vcc
	v_xor_b32_e32 v10, v4, v8
	v_xor_b32_e32 v9, v5, v8
	v_mad_u64_u32 v[4:5], s[2:3], v10, v6, 0
	v_mul_hi_u32 v7, v10, v3
	v_add_co_u32_e32 v11, vcc, v7, v4
	v_addc_co_u32_e32 v12, vcc, 0, v5, vcc
	v_mad_u64_u32 v[4:5], s[2:3], v9, v6, 0
	v_mad_u64_u32 v[6:7], s[2:3], v9, v3, 0
	v_add_co_u32_e32 v3, vcc, v11, v6
	v_addc_co_u32_e32 v3, vcc, v12, v7, vcc
	v_addc_co_u32_e32 v5, vcc, 0, v5, vcc
	v_add_co_u32_e32 v3, vcc, v3, v4
	v_addc_co_u32_e32 v4, vcc, 0, v5, vcc
	v_mul_lo_u32 v6, s37, v3
	v_mul_lo_u32 v7, s36, v4
	v_mad_u64_u32 v[4:5], s[2:3], s36, v3, 0
	v_add3_u32 v5, v5, v7, v6
	v_sub_u32_e32 v6, v9, v5
	v_mov_b32_e32 v7, s37
	v_sub_co_u32_e32 v4, vcc, v10, v4
	v_subb_co_u32_e64 v6, s[2:3], v6, v7, vcc
	v_subrev_co_u32_e64 v7, s[2:3], s36, v4
	v_subbrev_co_u32_e64 v6, s[2:3], 0, v6, s[2:3]
	v_cmp_le_u32_e64 s[2:3], s37, v6
	v_subb_co_u32_e32 v5, vcc, v9, v5, vcc
	v_cndmask_b32_e64 v10, 0, -1, s[2:3]
	v_cmp_le_u32_e64 s[2:3], s36, v7
	v_cmp_le_u32_e32 vcc, s37, v5
	v_cndmask_b32_e64 v7, 0, -1, s[2:3]
	v_cmp_eq_u32_e64 s[2:3], s37, v6
	v_cndmask_b32_e64 v9, 0, -1, vcc
	v_cmp_le_u32_e32 vcc, s36, v4
	v_cndmask_b32_e64 v6, v10, v7, s[2:3]
	v_cndmask_b32_e64 v4, 0, -1, vcc
	v_cmp_eq_u32_e32 vcc, s37, v5
	v_add_co_u32_e64 v7, s[2:3], 2, v3
	v_add_co_u32_e64 v10, s[2:3], 1, v3
	v_cndmask_b32_e32 v4, v9, v4, vcc
	v_cmp_ne_u32_e32 vcc, 0, v6
	v_cndmask_b32_e32 v5, v10, v7, vcc
	v_cmp_ne_u32_e32 vcc, 0, v4
	v_cndmask_b32_e32 v3, v3, v5, vcc
	v_xor_b32_e32 v4, s34, v8
	v_xor_b32_e32 v3, v3, v4
	v_sub_co_u32_e32 v6, vcc, v3, v4
                                        ; implicit-def: $vgpr4_vgpr5
.LBB41_14:                              ;   in Loop: Header=BB41_4 Depth=1
	s_andn2_saveexec_b64 s[2:3], s[30:31]
	s_cbranch_execz .LBB41_2
; %bb.15:                               ;   in Loop: Header=BB41_4 Depth=1
	v_cvt_f32_u32_e32 v3, s33
	s_sub_i32 s30, 0, s33
	v_rcp_iflag_f32_e32 v3, v3
	v_mul_f32_e32 v3, 0x4f7ffffe, v3
	v_cvt_u32_f32_e32 v3, v3
	v_mul_lo_u32 v5, s30, v3
	v_mul_hi_u32 v5, v3, v5
	v_add_u32_e32 v3, v3, v5
	v_mul_hi_u32 v3, v4, v3
	v_mul_lo_u32 v5, v3, s33
	v_sub_u32_e32 v4, v4, v5
	v_add_u32_e32 v6, 1, v3
	v_subrev_u32_e32 v5, s33, v4
	v_cmp_le_u32_e32 vcc, s33, v4
	v_cndmask_b32_e32 v4, v4, v5, vcc
	v_cndmask_b32_e32 v3, v3, v6, vcc
	v_add_u32_e32 v5, 1, v3
	v_cmp_le_u32_e32 vcc, s33, v4
	v_cndmask_b32_e32 v6, v3, v5, vcc
	s_branch .LBB41_2
.LBB41_16:
	s_endpgm
	.section	.rodata,"a",@progbits
	.p2align	6, 0x0
	.amdhsa_kernel _ZN2at4cuda17kernelHistogram1DIlllLi1ELi2ELin1ELNS0_23CUDAHistogramMemoryTypeE1EZNS0_21CUDA_tensor_histogramIllLb0EEEbNS_6TensorES4_S4_lNS_14AccumulateTypeIT0_Lb1EE4typeES8_NS0_13TensorArgTypeES9_S9_EUllE_EEvNS0_6detail10TensorInfoIT_T1_EESF_NSC_IKS6_SE_EElS8_S8_SE_T6_
		.amdhsa_group_segment_fixed_size 0
		.amdhsa_private_segment_fixed_size 0
		.amdhsa_kernarg_size 1952
		.amdhsa_user_sgpr_count 6
		.amdhsa_user_sgpr_private_segment_buffer 1
		.amdhsa_user_sgpr_dispatch_ptr 0
		.amdhsa_user_sgpr_queue_ptr 0
		.amdhsa_user_sgpr_kernarg_segment_ptr 1
		.amdhsa_user_sgpr_dispatch_id 0
		.amdhsa_user_sgpr_flat_scratch_init 0
		.amdhsa_user_sgpr_kernarg_preload_length 0
		.amdhsa_user_sgpr_kernarg_preload_offset 0
		.amdhsa_user_sgpr_private_segment_size 0
		.amdhsa_uses_dynamic_stack 0
		.amdhsa_system_sgpr_private_segment_wavefront_offset 0
		.amdhsa_system_sgpr_workgroup_id_x 1
		.amdhsa_system_sgpr_workgroup_id_y 0
		.amdhsa_system_sgpr_workgroup_id_z 0
		.amdhsa_system_sgpr_workgroup_info 0
		.amdhsa_system_vgpr_workitem_id 0
		.amdhsa_next_free_vgpr 18
		.amdhsa_next_free_sgpr 45
		.amdhsa_accum_offset 20
		.amdhsa_reserve_vcc 1
		.amdhsa_reserve_flat_scratch 0
		.amdhsa_float_round_mode_32 0
		.amdhsa_float_round_mode_16_64 0
		.amdhsa_float_denorm_mode_32 3
		.amdhsa_float_denorm_mode_16_64 3
		.amdhsa_dx10_clamp 1
		.amdhsa_ieee_mode 1
		.amdhsa_fp16_overflow 0
		.amdhsa_tg_split 0
		.amdhsa_exception_fp_ieee_invalid_op 0
		.amdhsa_exception_fp_denorm_src 0
		.amdhsa_exception_fp_ieee_div_zero 0
		.amdhsa_exception_fp_ieee_overflow 0
		.amdhsa_exception_fp_ieee_underflow 0
		.amdhsa_exception_fp_ieee_inexact 0
		.amdhsa_exception_int_div_zero 0
	.end_amdhsa_kernel
	.section	.text._ZN2at4cuda17kernelHistogram1DIlllLi1ELi2ELin1ELNS0_23CUDAHistogramMemoryTypeE1EZNS0_21CUDA_tensor_histogramIllLb0EEEbNS_6TensorES4_S4_lNS_14AccumulateTypeIT0_Lb1EE4typeES8_NS0_13TensorArgTypeES9_S9_EUllE_EEvNS0_6detail10TensorInfoIT_T1_EESF_NSC_IKS6_SE_EElS8_S8_SE_T6_,"axG",@progbits,_ZN2at4cuda17kernelHistogram1DIlllLi1ELi2ELin1ELNS0_23CUDAHistogramMemoryTypeE1EZNS0_21CUDA_tensor_histogramIllLb0EEEbNS_6TensorES4_S4_lNS_14AccumulateTypeIT0_Lb1EE4typeES8_NS0_13TensorArgTypeES9_S9_EUllE_EEvNS0_6detail10TensorInfoIT_T1_EESF_NSC_IKS6_SE_EElS8_S8_SE_T6_,comdat
.Lfunc_end41:
	.size	_ZN2at4cuda17kernelHistogram1DIlllLi1ELi2ELin1ELNS0_23CUDAHistogramMemoryTypeE1EZNS0_21CUDA_tensor_histogramIllLb0EEEbNS_6TensorES4_S4_lNS_14AccumulateTypeIT0_Lb1EE4typeES8_NS0_13TensorArgTypeES9_S9_EUllE_EEvNS0_6detail10TensorInfoIT_T1_EESF_NSC_IKS6_SE_EElS8_S8_SE_T6_, .Lfunc_end41-_ZN2at4cuda17kernelHistogram1DIlllLi1ELi2ELin1ELNS0_23CUDAHistogramMemoryTypeE1EZNS0_21CUDA_tensor_histogramIllLb0EEEbNS_6TensorES4_S4_lNS_14AccumulateTypeIT0_Lb1EE4typeES8_NS0_13TensorArgTypeES9_S9_EUllE_EEvNS0_6detail10TensorInfoIT_T1_EESF_NSC_IKS6_SE_EElS8_S8_SE_T6_
                                        ; -- End function
	.section	.AMDGPU.csdata,"",@progbits
; Kernel info:
; codeLenInByte = 2288
; NumSgprs: 49
; NumVgprs: 18
; NumAgprs: 0
; TotalNumVgprs: 18
; ScratchSize: 0
; MemoryBound: 0
; FloatMode: 240
; IeeeMode: 1
; LDSByteSize: 0 bytes/workgroup (compile time only)
; SGPRBlocks: 6
; VGPRBlocks: 2
; NumSGPRsForWavesPerEU: 49
; NumVGPRsForWavesPerEU: 18
; AccumOffset: 20
; Occupancy: 8
; WaveLimiterHint : 1
; COMPUTE_PGM_RSRC2:SCRATCH_EN: 0
; COMPUTE_PGM_RSRC2:USER_SGPR: 6
; COMPUTE_PGM_RSRC2:TRAP_HANDLER: 0
; COMPUTE_PGM_RSRC2:TGID_X_EN: 1
; COMPUTE_PGM_RSRC2:TGID_Y_EN: 0
; COMPUTE_PGM_RSRC2:TGID_Z_EN: 0
; COMPUTE_PGM_RSRC2:TIDIG_COMP_CNT: 0
; COMPUTE_PGM_RSRC3_GFX90A:ACCUM_OFFSET: 4
; COMPUTE_PGM_RSRC3_GFX90A:TG_SPLIT: 0
	.section	.text._ZN2at4cuda17kernelHistogram1DIlllLi1ELi2ELin1ELNS0_23CUDAHistogramMemoryTypeE0EZNS0_21CUDA_tensor_histogramIllLb0EEEbNS_6TensorES4_S4_lNS_14AccumulateTypeIT0_Lb1EE4typeES8_NS0_13TensorArgTypeES9_S9_EUllE0_EEvNS0_6detail10TensorInfoIT_T1_EESF_NSC_IKS6_SE_EElS8_S8_SE_T6_,"axG",@progbits,_ZN2at4cuda17kernelHistogram1DIlllLi1ELi2ELin1ELNS0_23CUDAHistogramMemoryTypeE0EZNS0_21CUDA_tensor_histogramIllLb0EEEbNS_6TensorES4_S4_lNS_14AccumulateTypeIT0_Lb1EE4typeES8_NS0_13TensorArgTypeES9_S9_EUllE0_EEvNS0_6detail10TensorInfoIT_T1_EESF_NSC_IKS6_SE_EElS8_S8_SE_T6_,comdat
	.protected	_ZN2at4cuda17kernelHistogram1DIlllLi1ELi2ELin1ELNS0_23CUDAHistogramMemoryTypeE0EZNS0_21CUDA_tensor_histogramIllLb0EEEbNS_6TensorES4_S4_lNS_14AccumulateTypeIT0_Lb1EE4typeES8_NS0_13TensorArgTypeES9_S9_EUllE0_EEvNS0_6detail10TensorInfoIT_T1_EESF_NSC_IKS6_SE_EElS8_S8_SE_T6_ ; -- Begin function _ZN2at4cuda17kernelHistogram1DIlllLi1ELi2ELin1ELNS0_23CUDAHistogramMemoryTypeE0EZNS0_21CUDA_tensor_histogramIllLb0EEEbNS_6TensorES4_S4_lNS_14AccumulateTypeIT0_Lb1EE4typeES8_NS0_13TensorArgTypeES9_S9_EUllE0_EEvNS0_6detail10TensorInfoIT_T1_EESF_NSC_IKS6_SE_EElS8_S8_SE_T6_
	.globl	_ZN2at4cuda17kernelHistogram1DIlllLi1ELi2ELin1ELNS0_23CUDAHistogramMemoryTypeE0EZNS0_21CUDA_tensor_histogramIllLb0EEEbNS_6TensorES4_S4_lNS_14AccumulateTypeIT0_Lb1EE4typeES8_NS0_13TensorArgTypeES9_S9_EUllE0_EEvNS0_6detail10TensorInfoIT_T1_EESF_NSC_IKS6_SE_EElS8_S8_SE_T6_
	.p2align	8
	.type	_ZN2at4cuda17kernelHistogram1DIlllLi1ELi2ELin1ELNS0_23CUDAHistogramMemoryTypeE0EZNS0_21CUDA_tensor_histogramIllLb0EEEbNS_6TensorES4_S4_lNS_14AccumulateTypeIT0_Lb1EE4typeES8_NS0_13TensorArgTypeES9_S9_EUllE0_EEvNS0_6detail10TensorInfoIT_T1_EESF_NSC_IKS6_SE_EElS8_S8_SE_T6_,@function
_ZN2at4cuda17kernelHistogram1DIlllLi1ELi2ELin1ELNS0_23CUDAHistogramMemoryTypeE0EZNS0_21CUDA_tensor_histogramIllLb0EEEbNS_6TensorES4_S4_lNS_14AccumulateTypeIT0_Lb1EE4typeES8_NS0_13TensorArgTypeES9_S9_EUllE0_EEvNS0_6detail10TensorInfoIT_T1_EESF_NSC_IKS6_SE_EElS8_S8_SE_T6_: ; @_ZN2at4cuda17kernelHistogram1DIlllLi1ELi2ELin1ELNS0_23CUDAHistogramMemoryTypeE0EZNS0_21CUDA_tensor_histogramIllLb0EEEbNS_6TensorES4_S4_lNS_14AccumulateTypeIT0_Lb1EE4typeES8_NS0_13TensorArgTypeES9_S9_EUllE0_EEvNS0_6detail10TensorInfoIT_T1_EESF_NSC_IKS6_SE_EElS8_S8_SE_T6_
; %bb.0:
	s_load_dwordx4 s[16:19], s[4:5], 0x0
	v_mov_b32_e32 v1, 0
	s_add_u32 s2, s4, 0x508
	s_addc_u32 s3, s5, 0
                                        ; implicit-def: $sgpr7
                                        ; implicit-def: $sgpr10
	s_waitcnt lgkmcnt(0)
	v_cmp_gt_i64_e64 s[0:1], s[18:19], v[0:1]
	v_cmp_le_i64_e32 vcc, s[18:19], v[0:1]
	s_and_saveexec_b64 s[8:9], vcc
	s_xor_b64 s[8:9], exec, s[8:9]
	s_cbranch_execz .LBB42_2
; %bb.1:
	s_load_dword s7, s[2:3], 0xc
	s_waitcnt lgkmcnt(0)
	s_and_b32 s10, s7, 0xffff
.LBB42_2:
	s_or_saveexec_b64 s[8:9], s[8:9]
	s_load_dwordx2 s[20:21], s[4:5], 0xd0
	v_mov_b32_e32 v7, s7
	v_mov_b32_e32 v15, s10
	v_lshl_add_u32 v14, v0, 3, 0
	s_xor_b64 exec, exec, s[8:9]
	s_cbranch_execz .LBB42_6
; %bb.3:
	s_load_dword s7, s[2:3], 0xc
	s_mov_b32 s14, 0
	v_mov_b32_e32 v2, 0
	v_lshl_add_u32 v6, v0, 3, 0
	s_mov_b64 s[10:11], 0
	s_waitcnt lgkmcnt(0)
	s_and_b32 s12, s7, 0xffff
	s_lshl_b32 s13, s12, 3
	v_mov_b32_e32 v3, v2
	v_mov_b32_e32 v7, s14
	v_pk_mov_b32 v[4:5], v[0:1], v[0:1] op_sel:[0,1]
.LBB42_4:                               ; =>This Inner Loop Header: Depth=1
	v_add_co_u32_e32 v4, vcc, s12, v4
	v_addc_co_u32_e32 v5, vcc, v5, v7, vcc
	v_cmp_le_i64_e32 vcc, s[18:19], v[4:5]
	ds_write_b64 v6, v[2:3]
	s_or_b64 s[10:11], vcc, s[10:11]
	v_add_u32_e32 v6, s13, v6
	s_andn2_b64 exec, exec, s[10:11]
	s_cbranch_execnz .LBB42_4
; %bb.5:
	s_or_b64 exec, exec, s[10:11]
	v_mov_b32_e32 v7, s7
	v_mov_b32_e32 v15, s12
.LBB42_6:
	s_or_b64 exec, exec, s[8:9]
	s_load_dwordx8 s[8:15], s[4:5], 0x4e0
	v_mad_u64_u32 v[2:3], s[6:7], s6, v15, v[0:1]
	v_mov_b32_e32 v4, 0
	v_mov_b32_e32 v3, v4
	s_waitcnt lgkmcnt(0)
	v_cmp_gt_i64_e32 vcc, s[14:15], v[2:3]
	s_barrier
	s_and_saveexec_b64 s[6:7], vcc
	s_cbranch_execz .LBB42_22
; %bb.7:
	s_load_dword s26, s[4:5], 0x4d8
	s_load_dwordx2 s[22:23], s[4:5], 0x410
	s_load_dwordx2 s[24:25], s[4:5], 0x340
	s_add_u32 s27, s4, 0x340
	s_addc_u32 s29, s5, 0
	s_waitcnt lgkmcnt(0)
	s_cmp_gt_i32 s26, 1
	s_load_dword s28, s[2:3], 0x0
	s_cselect_b64 s[2:3], -1, 0
	s_sub_u32 s33, s12, s10
	s_subb_u32 s42, s13, s11
	s_mov_b32 s5, 0
	s_add_i32 s4, s26, -1
	s_add_i32 s43, s26, 1
	s_lshl_b64 s[4:5], s[4:5], 3
	s_add_u32 s4, s4, s27
	s_addc_u32 s5, s5, s29
	s_add_u32 s26, s4, 8
	v_cndmask_b32_e64 v5, 0, 1, s[2:3]
	s_waitcnt lgkmcnt(0)
	v_mul_lo_u32 v6, s28, v15
	s_addc_u32 s27, s5, 0
	s_mov_b64 s[28:29], 0
	v_cmp_ne_u32_e64 s[2:3], 1, v5
	s_branch .LBB42_10
.LBB42_8:                               ;   in Loop: Header=BB42_10 Depth=1
	s_or_b64 exec, exec, s[4:5]
	v_ashrrev_i32_e32 v11, 31, v10
	v_cmp_eq_u64_e32 vcc, s[8:9], v[10:11]
	v_subbrev_co_u32_e32 v5, vcc, 0, v10, vcc
	v_mov_b32_e32 v8, 1
	v_lshl_add_u32 v5, v5, 3, 0
	v_mov_b32_e32 v9, 0
	ds_add_u64 v5, v[8:9]
.LBB42_9:                               ;   in Loop: Header=BB42_10 Depth=1
	s_or_b64 exec, exec, s[30:31]
	v_add_co_u32_e32 v2, vcc, v2, v6
	v_addc_co_u32_e32 v3, vcc, 0, v3, vcc
	v_cmp_le_i64_e32 vcc, s[14:15], v[2:3]
	s_or_b64 s[28:29], vcc, s[28:29]
	s_andn2_b64 exec, exec, s[28:29]
	s_cbranch_execz .LBB42_22
.LBB42_10:                              ; =>This Loop Header: Depth=1
                                        ;     Child Loop BB42_11 Depth 2
	s_and_b64 vcc, exec, s[2:3]
	v_pk_mov_b32 v[8:9], 0, 0
	s_mov_b64 s[30:31], s[26:27]
	s_mov_b32 s44, s43
	v_pk_mov_b32 v[10:11], v[2:3], v[2:3] op_sel:[0,1]
	v_pk_mov_b32 v[12:13], v[2:3], v[2:3] op_sel:[0,1]
	s_cbranch_vccnz .LBB42_17
.LBB42_11:                              ;   Parent Loop BB42_10 Depth=1
                                        ; =>  This Inner Loop Header: Depth=2
	s_load_dwordx2 s[34:35], s[30:31], 0x0
                                        ; implicit-def: $vgpr12_vgpr13
	s_waitcnt lgkmcnt(0)
	v_or_b32_e32 v5, s35, v11
	v_cmp_ne_u64_e32 vcc, 0, v[4:5]
	s_and_saveexec_b64 s[4:5], vcc
	s_xor_b64 s[36:37], exec, s[4:5]
	s_cbranch_execz .LBB42_13
; %bb.12:                               ;   in Loop: Header=BB42_11 Depth=2
	s_ashr_i32 s38, s35, 31
	s_add_u32 s4, s34, s38
	s_mov_b32 s39, s38
	s_addc_u32 s5, s35, s38
	s_xor_b64 s[40:41], s[4:5], s[38:39]
	v_cvt_f32_u32_e32 v5, s40
	v_cvt_f32_u32_e32 v12, s41
	s_sub_u32 s4, 0, s40
	s_subb_u32 s5, 0, s41
	v_mac_f32_e32 v5, 0x4f800000, v12
	v_rcp_f32_e32 v5, v5
	v_mul_f32_e32 v5, 0x5f7ffffc, v5
	v_mul_f32_e32 v12, 0x2f800000, v5
	v_trunc_f32_e32 v12, v12
	v_mac_f32_e32 v5, 0xcf800000, v12
	v_cvt_u32_f32_e32 v12, v12
	v_cvt_u32_f32_e32 v5, v5
	v_mul_lo_u32 v13, s4, v12
	v_mul_hi_u32 v17, s4, v5
	v_mul_lo_u32 v16, s5, v5
	v_add_u32_e32 v13, v17, v13
	v_mul_lo_u32 v18, s4, v5
	v_add_u32_e32 v13, v13, v16
	v_mul_lo_u32 v17, v5, v13
	v_mul_hi_u32 v19, v5, v18
	v_mul_hi_u32 v16, v5, v13
	v_add_co_u32_e32 v17, vcc, v19, v17
	v_addc_co_u32_e32 v16, vcc, 0, v16, vcc
	v_mul_hi_u32 v20, v12, v18
	v_mul_lo_u32 v18, v12, v18
	v_add_co_u32_e32 v17, vcc, v17, v18
	v_mul_hi_u32 v19, v12, v13
	v_addc_co_u32_e32 v16, vcc, v16, v20, vcc
	v_addc_co_u32_e32 v17, vcc, 0, v19, vcc
	v_mul_lo_u32 v13, v12, v13
	v_add_co_u32_e32 v13, vcc, v16, v13
	v_addc_co_u32_e32 v16, vcc, 0, v17, vcc
	v_add_co_u32_e32 v5, vcc, v5, v13
	v_addc_co_u32_e32 v12, vcc, v12, v16, vcc
	v_mul_lo_u32 v13, s4, v12
	v_mul_hi_u32 v16, s4, v5
	v_add_u32_e32 v13, v16, v13
	v_mul_lo_u32 v16, s5, v5
	v_add_u32_e32 v13, v13, v16
	v_mul_lo_u32 v17, s4, v5
	v_mul_hi_u32 v18, v12, v17
	v_mul_lo_u32 v19, v12, v17
	v_mul_lo_u32 v21, v5, v13
	v_mul_hi_u32 v17, v5, v17
	v_mul_hi_u32 v20, v5, v13
	v_add_co_u32_e32 v17, vcc, v17, v21
	v_addc_co_u32_e32 v20, vcc, 0, v20, vcc
	v_add_co_u32_e32 v17, vcc, v17, v19
	v_mul_hi_u32 v16, v12, v13
	v_addc_co_u32_e32 v17, vcc, v20, v18, vcc
	v_addc_co_u32_e32 v16, vcc, 0, v16, vcc
	v_mul_lo_u32 v13, v12, v13
	v_add_co_u32_e32 v13, vcc, v17, v13
	v_addc_co_u32_e32 v16, vcc, 0, v16, vcc
	v_add_co_u32_e32 v5, vcc, v5, v13
	v_addc_co_u32_e32 v16, vcc, v12, v16, vcc
	v_ashrrev_i32_e32 v18, 31, v11
	v_add_co_u32_e32 v12, vcc, v10, v18
	v_addc_co_u32_e32 v13, vcc, v11, v18, vcc
	v_xor_b32_e32 v20, v12, v18
	v_xor_b32_e32 v19, v13, v18
	v_mad_u64_u32 v[12:13], s[4:5], v20, v16, 0
	v_mul_hi_u32 v17, v20, v5
	v_add_co_u32_e32 v21, vcc, v17, v12
	v_addc_co_u32_e32 v22, vcc, 0, v13, vcc
	v_mad_u64_u32 v[12:13], s[4:5], v19, v16, 0
	v_mad_u64_u32 v[16:17], s[4:5], v19, v5, 0
	v_add_co_u32_e32 v5, vcc, v21, v16
	v_addc_co_u32_e32 v5, vcc, v22, v17, vcc
	v_addc_co_u32_e32 v13, vcc, 0, v13, vcc
	v_add_co_u32_e32 v5, vcc, v5, v12
	v_addc_co_u32_e32 v16, vcc, 0, v13, vcc
	v_mul_lo_u32 v17, s41, v5
	v_mul_lo_u32 v21, s40, v16
	v_mad_u64_u32 v[12:13], s[4:5], s40, v5, 0
	v_add3_u32 v13, v13, v21, v17
	v_sub_u32_e32 v17, v19, v13
	v_mov_b32_e32 v21, s41
	v_sub_co_u32_e32 v12, vcc, v20, v12
	v_subb_co_u32_e64 v17, s[4:5], v17, v21, vcc
	v_subrev_co_u32_e64 v20, s[4:5], s40, v12
	v_subbrev_co_u32_e64 v17, s[4:5], 0, v17, s[4:5]
	v_cmp_le_u32_e64 s[4:5], s41, v17
	v_cndmask_b32_e64 v21, 0, -1, s[4:5]
	v_cmp_le_u32_e64 s[4:5], s40, v20
	v_cndmask_b32_e64 v20, 0, -1, s[4:5]
	v_cmp_eq_u32_e64 s[4:5], s41, v17
	v_cndmask_b32_e64 v17, v21, v20, s[4:5]
	v_add_co_u32_e64 v20, s[4:5], 2, v5
	v_subb_co_u32_e32 v13, vcc, v19, v13, vcc
	v_addc_co_u32_e64 v21, s[4:5], 0, v16, s[4:5]
	v_cmp_le_u32_e32 vcc, s41, v13
	v_add_co_u32_e64 v22, s[4:5], 1, v5
	v_cndmask_b32_e64 v19, 0, -1, vcc
	v_cmp_le_u32_e32 vcc, s40, v12
	v_addc_co_u32_e64 v23, s[4:5], 0, v16, s[4:5]
	v_cndmask_b32_e64 v12, 0, -1, vcc
	v_cmp_eq_u32_e32 vcc, s41, v13
	v_cmp_ne_u32_e64 s[4:5], 0, v17
	v_cndmask_b32_e32 v12, v19, v12, vcc
	v_cmp_ne_u32_e32 vcc, 0, v12
	v_cndmask_b32_e64 v13, v22, v20, s[4:5]
	v_cndmask_b32_e64 v17, v23, v21, s[4:5]
	v_cndmask_b32_e32 v5, v5, v13, vcc
	v_xor_b32_e32 v13, s38, v18
	v_cndmask_b32_e32 v12, v16, v17, vcc
	v_xor_b32_e32 v5, v5, v13
	v_xor_b32_e32 v16, v12, v13
	v_sub_co_u32_e32 v12, vcc, v5, v13
	v_subb_co_u32_e32 v13, vcc, v16, v13, vcc
.LBB42_13:                              ;   in Loop: Header=BB42_11 Depth=2
	s_andn2_saveexec_b64 s[4:5], s[36:37]
	s_cbranch_execz .LBB42_15
; %bb.14:                               ;   in Loop: Header=BB42_11 Depth=2
	v_cvt_f32_u32_e32 v5, s34
	s_sub_i32 s36, 0, s34
	v_rcp_iflag_f32_e32 v5, v5
	v_mul_f32_e32 v5, 0x4f7ffffe, v5
	v_cvt_u32_f32_e32 v5, v5
	v_mul_lo_u32 v12, s36, v5
	v_mul_hi_u32 v12, v5, v12
	v_add_u32_e32 v5, v5, v12
	v_mul_hi_u32 v5, v10, v5
	v_mul_lo_u32 v12, v5, s34
	v_sub_u32_e32 v12, v10, v12
	v_add_u32_e32 v13, 1, v5
	v_subrev_u32_e32 v16, s34, v12
	v_cmp_le_u32_e32 vcc, s34, v12
	v_cndmask_b32_e32 v12, v12, v16, vcc
	v_cndmask_b32_e32 v5, v5, v13, vcc
	v_add_u32_e32 v13, 1, v5
	v_cmp_le_u32_e32 vcc, s34, v12
	v_cndmask_b32_e32 v12, v5, v13, vcc
	v_mov_b32_e32 v13, v4
.LBB42_15:                              ;   in Loop: Header=BB42_11 Depth=2
	s_or_b64 exec, exec, s[4:5]
	v_mad_u64_u32 v[16:17], s[4:5], v12, s34, 0
	s_load_dwordx2 s[4:5], s[30:31], 0xc8
	v_mul_lo_u32 v5, v13, s34
	v_mul_lo_u32 v18, v12, s35
	v_add3_u32 v5, v17, v18, v5
	v_sub_co_u32_e32 v10, vcc, v10, v16
	s_add_i32 s44, s44, -1
	v_subb_co_u32_e32 v5, vcc, v11, v5, vcc
	s_add_u32 s30, s30, -8
	s_waitcnt lgkmcnt(0)
	v_mul_lo_u32 v5, s4, v5
	v_mul_lo_u32 v11, s5, v10
	v_mad_u64_u32 v[8:9], s[4:5], s4, v10, v[8:9]
	s_addc_u32 s31, s31, -1
	s_cmp_gt_u32 s44, 2
	v_add3_u32 v9, v11, v9, v5
	s_cbranch_scc0 .LBB42_17
; %bb.16:                               ;   in Loop: Header=BB42_11 Depth=2
	v_pk_mov_b32 v[10:11], v[12:13], v[12:13] op_sel:[0,1]
	s_branch .LBB42_11
.LBB42_17:                              ;   in Loop: Header=BB42_10 Depth=1
	v_mul_lo_u32 v5, s23, v12
	v_mul_lo_u32 v13, s22, v13
	v_mad_u64_u32 v[10:11], s[4:5], s22, v12, 0
	v_add3_u32 v11, v11, v13, v5
	v_lshlrev_b64 v[10:11], 3, v[10:11]
	v_mov_b32_e32 v5, s25
	v_add_co_u32_e32 v10, vcc, s24, v10
	v_addc_co_u32_e32 v5, vcc, v5, v11, vcc
	v_lshlrev_b64 v[8:9], 3, v[8:9]
	v_add_co_u32_e32 v8, vcc, v10, v8
	v_addc_co_u32_e32 v9, vcc, v5, v9, vcc
	global_load_dwordx2 v[8:9], v[8:9], off
	s_waitcnt vmcnt(0)
	v_cmp_le_i64_e32 vcc, s[10:11], v[8:9]
	v_cmp_ge_i64_e64 s[4:5], s[12:13], v[8:9]
	s_and_b64 s[4:5], vcc, s[4:5]
	s_and_saveexec_b64 s[30:31], s[4:5]
	s_cbranch_execz .LBB42_9
; %bb.18:                               ;   in Loop: Header=BB42_10 Depth=1
	v_mov_b32_e32 v5, s11
	v_subrev_co_u32_e32 v8, vcc, s10, v8
	v_subb_co_u32_e32 v5, vcc, v9, v5, vcc
	v_mul_lo_u32 v5, v5, s8
	v_mul_lo_u32 v10, v8, s9
	v_mad_u64_u32 v[8:9], s[4:5], v8, s8, 0
	v_add3_u32 v9, v9, v10, v5
	v_or_b32_e32 v5, s42, v9
	v_cmp_ne_u64_e32 vcc, 0, v[4:5]
                                        ; implicit-def: $vgpr10_vgpr11
	s_and_saveexec_b64 s[4:5], vcc
	s_xor_b64 s[34:35], exec, s[4:5]
	s_cbranch_execz .LBB42_20
; %bb.19:                               ;   in Loop: Header=BB42_10 Depth=1
	s_ashr_i32 s36, s42, 31
	s_add_u32 s4, s33, s36
	s_mov_b32 s37, s36
	s_addc_u32 s5, s42, s36
	s_xor_b64 s[38:39], s[4:5], s[36:37]
	v_cvt_f32_u32_e32 v5, s38
	v_cvt_f32_u32_e32 v10, s39
	s_sub_u32 s4, 0, s38
	s_subb_u32 s5, 0, s39
	v_mac_f32_e32 v5, 0x4f800000, v10
	v_rcp_f32_e32 v5, v5
	v_mul_f32_e32 v5, 0x5f7ffffc, v5
	v_mul_f32_e32 v10, 0x2f800000, v5
	v_trunc_f32_e32 v10, v10
	v_mac_f32_e32 v5, 0xcf800000, v10
	v_cvt_u32_f32_e32 v10, v10
	v_cvt_u32_f32_e32 v5, v5
	v_mul_lo_u32 v11, s4, v10
	v_mul_hi_u32 v13, s4, v5
	v_mul_lo_u32 v12, s5, v5
	v_add_u32_e32 v11, v13, v11
	v_mul_lo_u32 v16, s4, v5
	v_add_u32_e32 v11, v11, v12
	v_mul_lo_u32 v13, v5, v11
	v_mul_hi_u32 v17, v5, v16
	v_mul_hi_u32 v12, v5, v11
	v_add_co_u32_e32 v13, vcc, v17, v13
	v_addc_co_u32_e32 v12, vcc, 0, v12, vcc
	v_mul_hi_u32 v18, v10, v16
	v_mul_lo_u32 v16, v10, v16
	v_add_co_u32_e32 v13, vcc, v13, v16
	v_mul_hi_u32 v17, v10, v11
	v_addc_co_u32_e32 v12, vcc, v12, v18, vcc
	v_addc_co_u32_e32 v13, vcc, 0, v17, vcc
	v_mul_lo_u32 v11, v10, v11
	v_add_co_u32_e32 v11, vcc, v12, v11
	v_addc_co_u32_e32 v12, vcc, 0, v13, vcc
	v_add_co_u32_e32 v5, vcc, v5, v11
	v_addc_co_u32_e32 v10, vcc, v10, v12, vcc
	v_mul_lo_u32 v11, s4, v10
	v_mul_hi_u32 v12, s4, v5
	v_add_u32_e32 v11, v12, v11
	v_mul_lo_u32 v12, s5, v5
	v_add_u32_e32 v11, v11, v12
	v_mul_lo_u32 v13, s4, v5
	v_mul_hi_u32 v16, v10, v13
	v_mul_lo_u32 v17, v10, v13
	v_mul_lo_u32 v19, v5, v11
	v_mul_hi_u32 v13, v5, v13
	v_mul_hi_u32 v18, v5, v11
	v_add_co_u32_e32 v13, vcc, v13, v19
	v_addc_co_u32_e32 v18, vcc, 0, v18, vcc
	v_add_co_u32_e32 v13, vcc, v13, v17
	v_mul_hi_u32 v12, v10, v11
	v_addc_co_u32_e32 v13, vcc, v18, v16, vcc
	v_addc_co_u32_e32 v12, vcc, 0, v12, vcc
	v_mul_lo_u32 v11, v10, v11
	v_add_co_u32_e32 v11, vcc, v13, v11
	v_addc_co_u32_e32 v12, vcc, 0, v12, vcc
	v_add_co_u32_e32 v5, vcc, v5, v11
	v_addc_co_u32_e32 v10, vcc, v10, v12, vcc
	v_ashrrev_i32_e32 v12, 31, v9
	v_add_co_u32_e32 v8, vcc, v8, v12
	v_addc_co_u32_e32 v9, vcc, v9, v12, vcc
	v_xor_b32_e32 v16, v8, v12
	v_xor_b32_e32 v13, v9, v12
	v_mad_u64_u32 v[8:9], s[4:5], v16, v10, 0
	v_mul_hi_u32 v11, v16, v5
	v_add_co_u32_e32 v17, vcc, v11, v8
	v_addc_co_u32_e32 v18, vcc, 0, v9, vcc
	v_mad_u64_u32 v[8:9], s[4:5], v13, v10, 0
	v_mad_u64_u32 v[10:11], s[4:5], v13, v5, 0
	v_add_co_u32_e32 v5, vcc, v17, v10
	v_addc_co_u32_e32 v5, vcc, v18, v11, vcc
	v_addc_co_u32_e32 v9, vcc, 0, v9, vcc
	v_add_co_u32_e32 v5, vcc, v5, v8
	v_addc_co_u32_e32 v8, vcc, 0, v9, vcc
	v_mul_lo_u32 v10, s39, v5
	v_mul_lo_u32 v11, s38, v8
	v_mad_u64_u32 v[8:9], s[4:5], s38, v5, 0
	v_add3_u32 v9, v9, v11, v10
	v_sub_u32_e32 v10, v13, v9
	v_mov_b32_e32 v11, s39
	v_sub_co_u32_e32 v8, vcc, v16, v8
	v_subb_co_u32_e64 v10, s[4:5], v10, v11, vcc
	v_subrev_co_u32_e64 v11, s[4:5], s38, v8
	v_subbrev_co_u32_e64 v10, s[4:5], 0, v10, s[4:5]
	v_cmp_le_u32_e64 s[4:5], s39, v10
	v_subb_co_u32_e32 v9, vcc, v13, v9, vcc
	v_cndmask_b32_e64 v16, 0, -1, s[4:5]
	v_cmp_le_u32_e64 s[4:5], s38, v11
	v_cmp_le_u32_e32 vcc, s39, v9
	v_cndmask_b32_e64 v11, 0, -1, s[4:5]
	v_cmp_eq_u32_e64 s[4:5], s39, v10
	v_cndmask_b32_e64 v13, 0, -1, vcc
	v_cmp_le_u32_e32 vcc, s38, v8
	v_cndmask_b32_e64 v10, v16, v11, s[4:5]
	v_cndmask_b32_e64 v8, 0, -1, vcc
	v_cmp_eq_u32_e32 vcc, s39, v9
	v_add_co_u32_e64 v11, s[4:5], 2, v5
	v_add_co_u32_e64 v16, s[4:5], 1, v5
	v_cndmask_b32_e32 v8, v13, v8, vcc
	v_cmp_ne_u32_e32 vcc, 0, v10
	v_cndmask_b32_e32 v9, v16, v11, vcc
	v_cmp_ne_u32_e32 vcc, 0, v8
	v_cndmask_b32_e32 v5, v5, v9, vcc
	v_xor_b32_e32 v8, s36, v12
	v_xor_b32_e32 v5, v5, v8
	v_sub_co_u32_e32 v10, vcc, v5, v8
                                        ; implicit-def: $vgpr8_vgpr9
.LBB42_20:                              ;   in Loop: Header=BB42_10 Depth=1
	s_andn2_saveexec_b64 s[4:5], s[34:35]
	s_cbranch_execz .LBB42_8
; %bb.21:                               ;   in Loop: Header=BB42_10 Depth=1
	v_cvt_f32_u32_e32 v5, s33
	s_sub_i32 s34, 0, s33
	v_rcp_iflag_f32_e32 v5, v5
	v_mul_f32_e32 v5, 0x4f7ffffe, v5
	v_cvt_u32_f32_e32 v5, v5
	v_mul_lo_u32 v9, s34, v5
	v_mul_hi_u32 v9, v5, v9
	v_add_u32_e32 v5, v5, v9
	v_mul_hi_u32 v5, v8, v5
	v_mul_lo_u32 v9, v5, s33
	v_sub_u32_e32 v8, v8, v9
	v_add_u32_e32 v10, 1, v5
	v_subrev_u32_e32 v9, s33, v8
	v_cmp_le_u32_e32 vcc, s33, v8
	v_cndmask_b32_e32 v8, v8, v9, vcc
	v_cndmask_b32_e32 v5, v5, v10, vcc
	v_add_u32_e32 v9, 1, v5
	v_cmp_le_u32_e32 vcc, s33, v8
	v_cndmask_b32_e32 v10, v5, v9, vcc
	s_branch .LBB42_8
.LBB42_22:
	s_or_b64 exec, exec, s[6:7]
; %bb.23:
	s_waitcnt lgkmcnt(0)
	s_barrier
	s_and_saveexec_b64 s[2:3], s[0:1]
	s_cbranch_execz .LBB42_26
; %bb.24:
	v_mad_u64_u32 v[4:5], s[0:1], s20, v0, 0
	v_mov_b32_e32 v6, v5
	v_and_b32_e32 v2, 0xffff, v7
	v_mad_u64_u32 v[6:7], s[0:1], s21, v0, v[6:7]
	v_mov_b32_e32 v5, v6
	v_mad_u64_u32 v[6:7], s[0:1], s20, v2, 0
	v_mov_b32_e32 v8, v7
	v_lshlrev_b64 v[4:5], 3, v[4:5]
	v_mad_u64_u32 v[8:9], s[0:1], s21, v2, v[8:9]
	v_mov_b32_e32 v3, s17
	v_add_co_u32_e32 v4, vcc, s16, v4
	v_mov_b32_e32 v7, v8
	v_addc_co_u32_e32 v5, vcc, v3, v5, vcc
	v_lshlrev_b64 v[6:7], 3, v[6:7]
	v_lshlrev_b32_e32 v3, 3, v15
	s_mov_b64 s[0:1], 0
.LBB42_25:                              ; =>This Inner Loop Header: Depth=1
	ds_read_b64 v[8:9], v14
	v_add_co_u32_e32 v0, vcc, v0, v2
	v_addc_co_u32_e32 v1, vcc, 0, v1, vcc
	s_waitcnt lgkmcnt(0)
	global_atomic_add_x2 v[4:5], v[8:9], off
	v_cmp_le_i64_e32 vcc, s[18:19], v[0:1]
	s_or_b64 s[0:1], vcc, s[0:1]
	v_add_co_u32_e32 v4, vcc, v4, v6
	v_add_u32_e32 v14, v14, v3
	v_addc_co_u32_e32 v5, vcc, v5, v7, vcc
	s_andn2_b64 exec, exec, s[0:1]
	s_cbranch_execnz .LBB42_25
.LBB42_26:
	s_endpgm
	.section	.rodata,"a",@progbits
	.p2align	6, 0x0
	.amdhsa_kernel _ZN2at4cuda17kernelHistogram1DIlllLi1ELi2ELin1ELNS0_23CUDAHistogramMemoryTypeE0EZNS0_21CUDA_tensor_histogramIllLb0EEEbNS_6TensorES4_S4_lNS_14AccumulateTypeIT0_Lb1EE4typeES8_NS0_13TensorArgTypeES9_S9_EUllE0_EEvNS0_6detail10TensorInfoIT_T1_EESF_NSC_IKS6_SE_EElS8_S8_SE_T6_
		.amdhsa_group_segment_fixed_size 0
		.amdhsa_private_segment_fixed_size 0
		.amdhsa_kernarg_size 1544
		.amdhsa_user_sgpr_count 6
		.amdhsa_user_sgpr_private_segment_buffer 1
		.amdhsa_user_sgpr_dispatch_ptr 0
		.amdhsa_user_sgpr_queue_ptr 0
		.amdhsa_user_sgpr_kernarg_segment_ptr 1
		.amdhsa_user_sgpr_dispatch_id 0
		.amdhsa_user_sgpr_flat_scratch_init 0
		.amdhsa_user_sgpr_kernarg_preload_length 0
		.amdhsa_user_sgpr_kernarg_preload_offset 0
		.amdhsa_user_sgpr_private_segment_size 0
		.amdhsa_uses_dynamic_stack 0
		.amdhsa_system_sgpr_private_segment_wavefront_offset 0
		.amdhsa_system_sgpr_workgroup_id_x 1
		.amdhsa_system_sgpr_workgroup_id_y 0
		.amdhsa_system_sgpr_workgroup_id_z 0
		.amdhsa_system_sgpr_workgroup_info 0
		.amdhsa_system_vgpr_workitem_id 0
		.amdhsa_next_free_vgpr 24
		.amdhsa_next_free_sgpr 45
		.amdhsa_accum_offset 24
		.amdhsa_reserve_vcc 1
		.amdhsa_reserve_flat_scratch 0
		.amdhsa_float_round_mode_32 0
		.amdhsa_float_round_mode_16_64 0
		.amdhsa_float_denorm_mode_32 3
		.amdhsa_float_denorm_mode_16_64 3
		.amdhsa_dx10_clamp 1
		.amdhsa_ieee_mode 1
		.amdhsa_fp16_overflow 0
		.amdhsa_tg_split 0
		.amdhsa_exception_fp_ieee_invalid_op 0
		.amdhsa_exception_fp_denorm_src 0
		.amdhsa_exception_fp_ieee_div_zero 0
		.amdhsa_exception_fp_ieee_overflow 0
		.amdhsa_exception_fp_ieee_underflow 0
		.amdhsa_exception_fp_ieee_inexact 0
		.amdhsa_exception_int_div_zero 0
	.end_amdhsa_kernel
	.section	.text._ZN2at4cuda17kernelHistogram1DIlllLi1ELi2ELin1ELNS0_23CUDAHistogramMemoryTypeE0EZNS0_21CUDA_tensor_histogramIllLb0EEEbNS_6TensorES4_S4_lNS_14AccumulateTypeIT0_Lb1EE4typeES8_NS0_13TensorArgTypeES9_S9_EUllE0_EEvNS0_6detail10TensorInfoIT_T1_EESF_NSC_IKS6_SE_EElS8_S8_SE_T6_,"axG",@progbits,_ZN2at4cuda17kernelHistogram1DIlllLi1ELi2ELin1ELNS0_23CUDAHistogramMemoryTypeE0EZNS0_21CUDA_tensor_histogramIllLb0EEEbNS_6TensorES4_S4_lNS_14AccumulateTypeIT0_Lb1EE4typeES8_NS0_13TensorArgTypeES9_S9_EUllE0_EEvNS0_6detail10TensorInfoIT_T1_EESF_NSC_IKS6_SE_EElS8_S8_SE_T6_,comdat
.Lfunc_end42:
	.size	_ZN2at4cuda17kernelHistogram1DIlllLi1ELi2ELin1ELNS0_23CUDAHistogramMemoryTypeE0EZNS0_21CUDA_tensor_histogramIllLb0EEEbNS_6TensorES4_S4_lNS_14AccumulateTypeIT0_Lb1EE4typeES8_NS0_13TensorArgTypeES9_S9_EUllE0_EEvNS0_6detail10TensorInfoIT_T1_EESF_NSC_IKS6_SE_EElS8_S8_SE_T6_, .Lfunc_end42-_ZN2at4cuda17kernelHistogram1DIlllLi1ELi2ELin1ELNS0_23CUDAHistogramMemoryTypeE0EZNS0_21CUDA_tensor_histogramIllLb0EEEbNS_6TensorES4_S4_lNS_14AccumulateTypeIT0_Lb1EE4typeES8_NS0_13TensorArgTypeES9_S9_EUllE0_EEvNS0_6detail10TensorInfoIT_T1_EESF_NSC_IKS6_SE_EElS8_S8_SE_T6_
                                        ; -- End function
	.section	.AMDGPU.csdata,"",@progbits
; Kernel info:
; codeLenInByte = 2504
; NumSgprs: 49
; NumVgprs: 24
; NumAgprs: 0
; TotalNumVgprs: 24
; ScratchSize: 0
; MemoryBound: 0
; FloatMode: 240
; IeeeMode: 1
; LDSByteSize: 0 bytes/workgroup (compile time only)
; SGPRBlocks: 6
; VGPRBlocks: 2
; NumSGPRsForWavesPerEU: 49
; NumVGPRsForWavesPerEU: 24
; AccumOffset: 24
; Occupancy: 8
; WaveLimiterHint : 1
; COMPUTE_PGM_RSRC2:SCRATCH_EN: 0
; COMPUTE_PGM_RSRC2:USER_SGPR: 6
; COMPUTE_PGM_RSRC2:TRAP_HANDLER: 0
; COMPUTE_PGM_RSRC2:TGID_X_EN: 1
; COMPUTE_PGM_RSRC2:TGID_Y_EN: 0
; COMPUTE_PGM_RSRC2:TGID_Z_EN: 0
; COMPUTE_PGM_RSRC2:TIDIG_COMP_CNT: 0
; COMPUTE_PGM_RSRC3_GFX90A:ACCUM_OFFSET: 5
; COMPUTE_PGM_RSRC3_GFX90A:TG_SPLIT: 0
	.section	.text._ZN2at4cuda17kernelHistogram1DIlllLi1ELi2ELin1ELNS0_23CUDAHistogramMemoryTypeE1EZNS0_21CUDA_tensor_histogramIllLb0EEEbNS_6TensorES4_S4_lNS_14AccumulateTypeIT0_Lb1EE4typeES8_NS0_13TensorArgTypeES9_S9_EUllE0_EEvNS0_6detail10TensorInfoIT_T1_EESF_NSC_IKS6_SE_EElS8_S8_SE_T6_,"axG",@progbits,_ZN2at4cuda17kernelHistogram1DIlllLi1ELi2ELin1ELNS0_23CUDAHistogramMemoryTypeE1EZNS0_21CUDA_tensor_histogramIllLb0EEEbNS_6TensorES4_S4_lNS_14AccumulateTypeIT0_Lb1EE4typeES8_NS0_13TensorArgTypeES9_S9_EUllE0_EEvNS0_6detail10TensorInfoIT_T1_EESF_NSC_IKS6_SE_EElS8_S8_SE_T6_,comdat
	.protected	_ZN2at4cuda17kernelHistogram1DIlllLi1ELi2ELin1ELNS0_23CUDAHistogramMemoryTypeE1EZNS0_21CUDA_tensor_histogramIllLb0EEEbNS_6TensorES4_S4_lNS_14AccumulateTypeIT0_Lb1EE4typeES8_NS0_13TensorArgTypeES9_S9_EUllE0_EEvNS0_6detail10TensorInfoIT_T1_EESF_NSC_IKS6_SE_EElS8_S8_SE_T6_ ; -- Begin function _ZN2at4cuda17kernelHistogram1DIlllLi1ELi2ELin1ELNS0_23CUDAHistogramMemoryTypeE1EZNS0_21CUDA_tensor_histogramIllLb0EEEbNS_6TensorES4_S4_lNS_14AccumulateTypeIT0_Lb1EE4typeES8_NS0_13TensorArgTypeES9_S9_EUllE0_EEvNS0_6detail10TensorInfoIT_T1_EESF_NSC_IKS6_SE_EElS8_S8_SE_T6_
	.globl	_ZN2at4cuda17kernelHistogram1DIlllLi1ELi2ELin1ELNS0_23CUDAHistogramMemoryTypeE1EZNS0_21CUDA_tensor_histogramIllLb0EEEbNS_6TensorES4_S4_lNS_14AccumulateTypeIT0_Lb1EE4typeES8_NS0_13TensorArgTypeES9_S9_EUllE0_EEvNS0_6detail10TensorInfoIT_T1_EESF_NSC_IKS6_SE_EElS8_S8_SE_T6_
	.p2align	8
	.type	_ZN2at4cuda17kernelHistogram1DIlllLi1ELi2ELin1ELNS0_23CUDAHistogramMemoryTypeE1EZNS0_21CUDA_tensor_histogramIllLb0EEEbNS_6TensorES4_S4_lNS_14AccumulateTypeIT0_Lb1EE4typeES8_NS0_13TensorArgTypeES9_S9_EUllE0_EEvNS0_6detail10TensorInfoIT_T1_EESF_NSC_IKS6_SE_EElS8_S8_SE_T6_,@function
_ZN2at4cuda17kernelHistogram1DIlllLi1ELi2ELin1ELNS0_23CUDAHistogramMemoryTypeE1EZNS0_21CUDA_tensor_histogramIllLb0EEEbNS_6TensorES4_S4_lNS_14AccumulateTypeIT0_Lb1EE4typeES8_NS0_13TensorArgTypeES9_S9_EUllE0_EEvNS0_6detail10TensorInfoIT_T1_EESF_NSC_IKS6_SE_EElS8_S8_SE_T6_: ; @_ZN2at4cuda17kernelHistogram1DIlllLi1ELi2ELin1ELNS0_23CUDAHistogramMemoryTypeE1EZNS0_21CUDA_tensor_histogramIllLb0EEEbNS_6TensorES4_S4_lNS_14AccumulateTypeIT0_Lb1EE4typeES8_NS0_13TensorArgTypeES9_S9_EUllE0_EEvNS0_6detail10TensorInfoIT_T1_EESF_NSC_IKS6_SE_EElS8_S8_SE_T6_
; %bb.0:
	s_load_dword s2, s[4:5], 0x514
	s_load_dwordx8 s[8:15], s[4:5], 0x4e0
	s_add_u32 s0, s4, 0x508
	s_addc_u32 s1, s5, 0
	v_mov_b32_e32 v2, 0
	s_waitcnt lgkmcnt(0)
	s_and_b32 s2, s2, 0xffff
	s_mul_i32 s6, s6, s2
	v_add_u32_e32 v0, s6, v0
	v_mov_b32_e32 v1, v2
	v_cmp_gt_i64_e32 vcc, s[14:15], v[0:1]
	s_and_saveexec_b64 s[6:7], vcc
	s_cbranch_execz .LBB43_16
; %bb.1:
	s_load_dword s3, s[4:5], 0x4d8
	s_load_dwordx2 s[6:7], s[4:5], 0x0
	s_load_dwordx2 s[16:17], s[4:5], 0xd0
	s_load_dword s24, s[0:1], 0x0
	s_add_u32 s22, s4, 0x340
	s_addc_u32 s23, s5, 0
	s_mov_b32 s38, 0
	s_waitcnt lgkmcnt(0)
	s_cmp_gt_i32 s3, 1
	s_cselect_b64 s[0:1], -1, 0
	s_sub_u32 s33, s12, s10
	s_subb_u32 s36, s13, s11
	s_mul_i32 s37, s24, s2
	s_add_i32 s39, s3, 1
	s_add_i32 s2, s3, -1
	s_mov_b32 s3, s38
	s_load_dwordx2 s[18:19], s[4:5], 0x410
	s_load_dwordx2 s[20:21], s[4:5], 0x340
	s_lshl_b64 s[2:3], s[2:3], 3
	s_add_u32 s2, s2, s22
	s_addc_u32 s3, s3, s23
	s_add_u32 s4, s2, 8
	v_cndmask_b32_e64 v3, 0, 1, s[0:1]
	s_addc_u32 s5, s3, 0
	s_mov_b64 s[22:23], 0
	v_cmp_ne_u32_e64 s[0:1], 1, v3
	s_branch .LBB43_4
.LBB43_2:                               ;   in Loop: Header=BB43_4 Depth=1
	s_or_b64 exec, exec, s[2:3]
	v_ashrrev_i32_e32 v7, 31, v6
	v_cmp_eq_u64_e32 vcc, s[8:9], v[6:7]
	v_cndmask_b32_e64 v3, 0, 1, vcc
	v_sub_co_u32_e32 v3, vcc, v6, v3
	v_subbrev_co_u32_e32 v4, vcc, 0, v7, vcc
	v_mul_lo_u32 v6, v4, s16
	v_mul_lo_u32 v7, v3, s17
	v_mad_u64_u32 v[4:5], s[2:3], v3, s16, 0
	v_add3_u32 v5, v5, v7, v6
	v_lshlrev_b64 v[4:5], 3, v[4:5]
	v_mov_b32_e32 v3, s7
	v_add_co_u32_e32 v4, vcc, s6, v4
	v_mov_b32_e32 v6, 1
	v_addc_co_u32_e32 v5, vcc, v3, v5, vcc
	v_mov_b32_e32 v7, 0
	global_atomic_add_x2 v[4:5], v[6:7], off
.LBB43_3:                               ;   in Loop: Header=BB43_4 Depth=1
	s_or_b64 exec, exec, s[24:25]
	v_mov_b32_e32 v3, s38
	v_add_co_u32_e32 v0, vcc, s37, v0
	v_addc_co_u32_e32 v1, vcc, v1, v3, vcc
	v_cmp_le_i64_e32 vcc, s[14:15], v[0:1]
	s_or_b64 s[22:23], vcc, s[22:23]
	s_andn2_b64 exec, exec, s[22:23]
	s_cbranch_execz .LBB43_16
.LBB43_4:                               ; =>This Loop Header: Depth=1
                                        ;     Child Loop BB43_5 Depth 2
	s_and_b64 vcc, exec, s[0:1]
	v_pk_mov_b32 v[4:5], 0, 0
	s_mov_b64 s[24:25], s[4:5]
	s_mov_b32 s40, s39
	v_pk_mov_b32 v[6:7], v[0:1], v[0:1] op_sel:[0,1]
	v_pk_mov_b32 v[8:9], v[0:1], v[0:1] op_sel:[0,1]
	s_cbranch_vccnz .LBB43_11
.LBB43_5:                               ;   Parent Loop BB43_4 Depth=1
                                        ; =>  This Inner Loop Header: Depth=2
	s_load_dwordx2 s[26:27], s[24:25], 0x0
                                        ; implicit-def: $vgpr8_vgpr9
	s_waitcnt lgkmcnt(0)
	v_or_b32_e32 v3, s27, v7
	v_cmp_ne_u64_e32 vcc, 0, v[2:3]
	s_and_saveexec_b64 s[2:3], vcc
	s_xor_b64 s[28:29], exec, s[2:3]
	s_cbranch_execz .LBB43_7
; %bb.6:                                ;   in Loop: Header=BB43_5 Depth=2
	s_ashr_i32 s30, s27, 31
	s_add_u32 s2, s26, s30
	s_mov_b32 s31, s30
	s_addc_u32 s3, s27, s30
	s_xor_b64 s[34:35], s[2:3], s[30:31]
	v_cvt_f32_u32_e32 v3, s34
	v_cvt_f32_u32_e32 v8, s35
	s_sub_u32 s2, 0, s34
	s_subb_u32 s3, 0, s35
	v_mac_f32_e32 v3, 0x4f800000, v8
	v_rcp_f32_e32 v3, v3
	v_mul_f32_e32 v3, 0x5f7ffffc, v3
	v_mul_f32_e32 v8, 0x2f800000, v3
	v_trunc_f32_e32 v8, v8
	v_mac_f32_e32 v3, 0xcf800000, v8
	v_cvt_u32_f32_e32 v8, v8
	v_cvt_u32_f32_e32 v3, v3
	v_mul_lo_u32 v9, s2, v8
	v_mul_hi_u32 v11, s2, v3
	v_mul_lo_u32 v10, s3, v3
	v_add_u32_e32 v9, v11, v9
	v_mul_lo_u32 v12, s2, v3
	v_add_u32_e32 v9, v9, v10
	v_mul_lo_u32 v11, v3, v9
	v_mul_hi_u32 v13, v3, v12
	v_mul_hi_u32 v10, v3, v9
	v_add_co_u32_e32 v11, vcc, v13, v11
	v_addc_co_u32_e32 v10, vcc, 0, v10, vcc
	v_mul_hi_u32 v14, v8, v12
	v_mul_lo_u32 v12, v8, v12
	v_add_co_u32_e32 v11, vcc, v11, v12
	v_mul_hi_u32 v13, v8, v9
	v_addc_co_u32_e32 v10, vcc, v10, v14, vcc
	v_addc_co_u32_e32 v11, vcc, 0, v13, vcc
	v_mul_lo_u32 v9, v8, v9
	v_add_co_u32_e32 v9, vcc, v10, v9
	v_addc_co_u32_e32 v10, vcc, 0, v11, vcc
	v_add_co_u32_e32 v3, vcc, v3, v9
	v_addc_co_u32_e32 v8, vcc, v8, v10, vcc
	v_mul_lo_u32 v9, s2, v8
	v_mul_hi_u32 v10, s2, v3
	v_add_u32_e32 v9, v10, v9
	v_mul_lo_u32 v10, s3, v3
	v_add_u32_e32 v9, v9, v10
	v_mul_lo_u32 v11, s2, v3
	v_mul_hi_u32 v12, v8, v11
	v_mul_lo_u32 v13, v8, v11
	v_mul_lo_u32 v15, v3, v9
	v_mul_hi_u32 v11, v3, v11
	v_mul_hi_u32 v14, v3, v9
	v_add_co_u32_e32 v11, vcc, v11, v15
	v_addc_co_u32_e32 v14, vcc, 0, v14, vcc
	v_add_co_u32_e32 v11, vcc, v11, v13
	v_mul_hi_u32 v10, v8, v9
	v_addc_co_u32_e32 v11, vcc, v14, v12, vcc
	v_addc_co_u32_e32 v10, vcc, 0, v10, vcc
	v_mul_lo_u32 v9, v8, v9
	v_add_co_u32_e32 v9, vcc, v11, v9
	v_addc_co_u32_e32 v10, vcc, 0, v10, vcc
	v_add_co_u32_e32 v3, vcc, v3, v9
	v_addc_co_u32_e32 v10, vcc, v8, v10, vcc
	v_ashrrev_i32_e32 v12, 31, v7
	v_add_co_u32_e32 v8, vcc, v6, v12
	v_addc_co_u32_e32 v9, vcc, v7, v12, vcc
	v_xor_b32_e32 v14, v8, v12
	v_xor_b32_e32 v13, v9, v12
	v_mad_u64_u32 v[8:9], s[2:3], v14, v10, 0
	v_mul_hi_u32 v11, v14, v3
	v_add_co_u32_e32 v15, vcc, v11, v8
	v_addc_co_u32_e32 v16, vcc, 0, v9, vcc
	v_mad_u64_u32 v[8:9], s[2:3], v13, v10, 0
	v_mad_u64_u32 v[10:11], s[2:3], v13, v3, 0
	v_add_co_u32_e32 v3, vcc, v15, v10
	v_addc_co_u32_e32 v3, vcc, v16, v11, vcc
	v_addc_co_u32_e32 v9, vcc, 0, v9, vcc
	v_add_co_u32_e32 v3, vcc, v3, v8
	v_addc_co_u32_e32 v10, vcc, 0, v9, vcc
	v_mul_lo_u32 v11, s35, v3
	v_mul_lo_u32 v15, s34, v10
	v_mad_u64_u32 v[8:9], s[2:3], s34, v3, 0
	v_add3_u32 v9, v9, v15, v11
	v_sub_u32_e32 v11, v13, v9
	v_mov_b32_e32 v15, s35
	v_sub_co_u32_e32 v8, vcc, v14, v8
	v_subb_co_u32_e64 v11, s[2:3], v11, v15, vcc
	v_subrev_co_u32_e64 v14, s[2:3], s34, v8
	v_subbrev_co_u32_e64 v11, s[2:3], 0, v11, s[2:3]
	v_cmp_le_u32_e64 s[2:3], s35, v11
	v_cndmask_b32_e64 v15, 0, -1, s[2:3]
	v_cmp_le_u32_e64 s[2:3], s34, v14
	v_cndmask_b32_e64 v14, 0, -1, s[2:3]
	v_cmp_eq_u32_e64 s[2:3], s35, v11
	v_cndmask_b32_e64 v11, v15, v14, s[2:3]
	v_add_co_u32_e64 v14, s[2:3], 2, v3
	v_subb_co_u32_e32 v9, vcc, v13, v9, vcc
	v_addc_co_u32_e64 v15, s[2:3], 0, v10, s[2:3]
	v_cmp_le_u32_e32 vcc, s35, v9
	v_add_co_u32_e64 v16, s[2:3], 1, v3
	v_cndmask_b32_e64 v13, 0, -1, vcc
	v_cmp_le_u32_e32 vcc, s34, v8
	v_addc_co_u32_e64 v17, s[2:3], 0, v10, s[2:3]
	v_cndmask_b32_e64 v8, 0, -1, vcc
	v_cmp_eq_u32_e32 vcc, s35, v9
	v_cmp_ne_u32_e64 s[2:3], 0, v11
	v_cndmask_b32_e32 v8, v13, v8, vcc
	v_cmp_ne_u32_e32 vcc, 0, v8
	v_cndmask_b32_e64 v9, v16, v14, s[2:3]
	v_cndmask_b32_e64 v11, v17, v15, s[2:3]
	v_cndmask_b32_e32 v3, v3, v9, vcc
	v_xor_b32_e32 v9, s30, v12
	v_cndmask_b32_e32 v8, v10, v11, vcc
	v_xor_b32_e32 v3, v3, v9
	v_xor_b32_e32 v10, v8, v9
	v_sub_co_u32_e32 v8, vcc, v3, v9
	v_subb_co_u32_e32 v9, vcc, v10, v9, vcc
.LBB43_7:                               ;   in Loop: Header=BB43_5 Depth=2
	s_andn2_saveexec_b64 s[2:3], s[28:29]
	s_cbranch_execz .LBB43_9
; %bb.8:                                ;   in Loop: Header=BB43_5 Depth=2
	v_cvt_f32_u32_e32 v3, s26
	s_sub_i32 s28, 0, s26
	v_rcp_iflag_f32_e32 v3, v3
	v_mul_f32_e32 v3, 0x4f7ffffe, v3
	v_cvt_u32_f32_e32 v3, v3
	v_mul_lo_u32 v8, s28, v3
	v_mul_hi_u32 v8, v3, v8
	v_add_u32_e32 v3, v3, v8
	v_mul_hi_u32 v3, v6, v3
	v_mul_lo_u32 v8, v3, s26
	v_sub_u32_e32 v8, v6, v8
	v_add_u32_e32 v9, 1, v3
	v_subrev_u32_e32 v10, s26, v8
	v_cmp_le_u32_e32 vcc, s26, v8
	v_cndmask_b32_e32 v8, v8, v10, vcc
	v_cndmask_b32_e32 v3, v3, v9, vcc
	v_add_u32_e32 v9, 1, v3
	v_cmp_le_u32_e32 vcc, s26, v8
	v_cndmask_b32_e32 v8, v3, v9, vcc
	v_mov_b32_e32 v9, v2
.LBB43_9:                               ;   in Loop: Header=BB43_5 Depth=2
	s_or_b64 exec, exec, s[2:3]
	v_mad_u64_u32 v[10:11], s[2:3], v8, s26, 0
	s_load_dwordx2 s[2:3], s[24:25], 0xc8
	v_mul_lo_u32 v3, v9, s26
	v_mul_lo_u32 v12, v8, s27
	v_add3_u32 v3, v11, v12, v3
	v_sub_co_u32_e32 v6, vcc, v6, v10
	s_add_i32 s40, s40, -1
	v_subb_co_u32_e32 v3, vcc, v7, v3, vcc
	s_add_u32 s24, s24, -8
	s_waitcnt lgkmcnt(0)
	v_mul_lo_u32 v3, s2, v3
	v_mul_lo_u32 v7, s3, v6
	v_mad_u64_u32 v[4:5], s[2:3], s2, v6, v[4:5]
	s_addc_u32 s25, s25, -1
	s_cmp_gt_u32 s40, 2
	v_add3_u32 v5, v7, v5, v3
	s_cbranch_scc0 .LBB43_11
; %bb.10:                               ;   in Loop: Header=BB43_5 Depth=2
	v_pk_mov_b32 v[6:7], v[8:9], v[8:9] op_sel:[0,1]
	s_branch .LBB43_5
.LBB43_11:                              ;   in Loop: Header=BB43_4 Depth=1
	s_waitcnt lgkmcnt(0)
	v_mul_lo_u32 v3, s19, v8
	v_mul_lo_u32 v9, s18, v9
	v_mad_u64_u32 v[6:7], s[2:3], s18, v8, 0
	v_add3_u32 v7, v7, v9, v3
	v_lshlrev_b64 v[6:7], 3, v[6:7]
	v_mov_b32_e32 v3, s21
	v_add_co_u32_e32 v6, vcc, s20, v6
	v_addc_co_u32_e32 v3, vcc, v3, v7, vcc
	v_lshlrev_b64 v[4:5], 3, v[4:5]
	v_add_co_u32_e32 v4, vcc, v6, v4
	v_addc_co_u32_e32 v5, vcc, v3, v5, vcc
	global_load_dwordx2 v[4:5], v[4:5], off
	s_waitcnt vmcnt(0)
	v_cmp_le_i64_e32 vcc, s[10:11], v[4:5]
	v_cmp_ge_i64_e64 s[2:3], s[12:13], v[4:5]
	s_and_b64 s[2:3], vcc, s[2:3]
	s_and_saveexec_b64 s[24:25], s[2:3]
	s_cbranch_execz .LBB43_3
; %bb.12:                               ;   in Loop: Header=BB43_4 Depth=1
	v_mov_b32_e32 v3, s11
	v_subrev_co_u32_e32 v4, vcc, s10, v4
	v_subb_co_u32_e32 v3, vcc, v5, v3, vcc
	v_mul_lo_u32 v3, v3, s8
	v_mul_lo_u32 v6, v4, s9
	v_mad_u64_u32 v[4:5], s[2:3], v4, s8, 0
	v_add3_u32 v5, v5, v6, v3
	v_or_b32_e32 v3, s36, v5
	v_cmp_ne_u64_e32 vcc, 0, v[2:3]
                                        ; implicit-def: $vgpr6_vgpr7
	s_and_saveexec_b64 s[2:3], vcc
	s_xor_b64 s[26:27], exec, s[2:3]
	s_cbranch_execz .LBB43_14
; %bb.13:                               ;   in Loop: Header=BB43_4 Depth=1
	s_ashr_i32 s28, s36, 31
	s_add_u32 s2, s33, s28
	s_mov_b32 s29, s28
	s_addc_u32 s3, s36, s28
	s_xor_b64 s[30:31], s[2:3], s[28:29]
	v_cvt_f32_u32_e32 v3, s30
	v_cvt_f32_u32_e32 v6, s31
	s_sub_u32 s2, 0, s30
	s_subb_u32 s3, 0, s31
	v_mac_f32_e32 v3, 0x4f800000, v6
	v_rcp_f32_e32 v3, v3
	v_mul_f32_e32 v3, 0x5f7ffffc, v3
	v_mul_f32_e32 v6, 0x2f800000, v3
	v_trunc_f32_e32 v6, v6
	v_mac_f32_e32 v3, 0xcf800000, v6
	v_cvt_u32_f32_e32 v6, v6
	v_cvt_u32_f32_e32 v3, v3
	v_mul_lo_u32 v7, s2, v6
	v_mul_hi_u32 v9, s2, v3
	v_mul_lo_u32 v8, s3, v3
	v_add_u32_e32 v7, v9, v7
	v_mul_lo_u32 v10, s2, v3
	v_add_u32_e32 v7, v7, v8
	v_mul_lo_u32 v9, v3, v7
	v_mul_hi_u32 v11, v3, v10
	v_mul_hi_u32 v8, v3, v7
	v_add_co_u32_e32 v9, vcc, v11, v9
	v_addc_co_u32_e32 v8, vcc, 0, v8, vcc
	v_mul_hi_u32 v12, v6, v10
	v_mul_lo_u32 v10, v6, v10
	v_add_co_u32_e32 v9, vcc, v9, v10
	v_mul_hi_u32 v11, v6, v7
	v_addc_co_u32_e32 v8, vcc, v8, v12, vcc
	v_addc_co_u32_e32 v9, vcc, 0, v11, vcc
	v_mul_lo_u32 v7, v6, v7
	v_add_co_u32_e32 v7, vcc, v8, v7
	v_addc_co_u32_e32 v8, vcc, 0, v9, vcc
	v_add_co_u32_e32 v3, vcc, v3, v7
	v_addc_co_u32_e32 v6, vcc, v6, v8, vcc
	v_mul_lo_u32 v7, s2, v6
	v_mul_hi_u32 v8, s2, v3
	v_add_u32_e32 v7, v8, v7
	v_mul_lo_u32 v8, s3, v3
	v_add_u32_e32 v7, v7, v8
	v_mul_lo_u32 v9, s2, v3
	v_mul_hi_u32 v10, v6, v9
	v_mul_lo_u32 v11, v6, v9
	v_mul_lo_u32 v13, v3, v7
	v_mul_hi_u32 v9, v3, v9
	v_mul_hi_u32 v12, v3, v7
	v_add_co_u32_e32 v9, vcc, v9, v13
	v_addc_co_u32_e32 v12, vcc, 0, v12, vcc
	v_add_co_u32_e32 v9, vcc, v9, v11
	v_mul_hi_u32 v8, v6, v7
	v_addc_co_u32_e32 v9, vcc, v12, v10, vcc
	v_addc_co_u32_e32 v8, vcc, 0, v8, vcc
	v_mul_lo_u32 v7, v6, v7
	v_add_co_u32_e32 v7, vcc, v9, v7
	v_addc_co_u32_e32 v8, vcc, 0, v8, vcc
	v_add_co_u32_e32 v3, vcc, v3, v7
	v_addc_co_u32_e32 v6, vcc, v6, v8, vcc
	v_ashrrev_i32_e32 v8, 31, v5
	v_add_co_u32_e32 v4, vcc, v4, v8
	v_addc_co_u32_e32 v5, vcc, v5, v8, vcc
	v_xor_b32_e32 v10, v4, v8
	v_xor_b32_e32 v9, v5, v8
	v_mad_u64_u32 v[4:5], s[2:3], v10, v6, 0
	v_mul_hi_u32 v7, v10, v3
	v_add_co_u32_e32 v11, vcc, v7, v4
	v_addc_co_u32_e32 v12, vcc, 0, v5, vcc
	v_mad_u64_u32 v[4:5], s[2:3], v9, v6, 0
	v_mad_u64_u32 v[6:7], s[2:3], v9, v3, 0
	v_add_co_u32_e32 v3, vcc, v11, v6
	v_addc_co_u32_e32 v3, vcc, v12, v7, vcc
	v_addc_co_u32_e32 v5, vcc, 0, v5, vcc
	v_add_co_u32_e32 v3, vcc, v3, v4
	v_addc_co_u32_e32 v4, vcc, 0, v5, vcc
	v_mul_lo_u32 v6, s31, v3
	v_mul_lo_u32 v7, s30, v4
	v_mad_u64_u32 v[4:5], s[2:3], s30, v3, 0
	v_add3_u32 v5, v5, v7, v6
	v_sub_u32_e32 v6, v9, v5
	v_mov_b32_e32 v7, s31
	v_sub_co_u32_e32 v4, vcc, v10, v4
	v_subb_co_u32_e64 v6, s[2:3], v6, v7, vcc
	v_subrev_co_u32_e64 v7, s[2:3], s30, v4
	v_subbrev_co_u32_e64 v6, s[2:3], 0, v6, s[2:3]
	v_cmp_le_u32_e64 s[2:3], s31, v6
	v_subb_co_u32_e32 v5, vcc, v9, v5, vcc
	v_cndmask_b32_e64 v10, 0, -1, s[2:3]
	v_cmp_le_u32_e64 s[2:3], s30, v7
	v_cmp_le_u32_e32 vcc, s31, v5
	v_cndmask_b32_e64 v7, 0, -1, s[2:3]
	v_cmp_eq_u32_e64 s[2:3], s31, v6
	v_cndmask_b32_e64 v9, 0, -1, vcc
	v_cmp_le_u32_e32 vcc, s30, v4
	v_cndmask_b32_e64 v6, v10, v7, s[2:3]
	v_cndmask_b32_e64 v4, 0, -1, vcc
	v_cmp_eq_u32_e32 vcc, s31, v5
	v_add_co_u32_e64 v7, s[2:3], 2, v3
	v_add_co_u32_e64 v10, s[2:3], 1, v3
	v_cndmask_b32_e32 v4, v9, v4, vcc
	v_cmp_ne_u32_e32 vcc, 0, v6
	v_cndmask_b32_e32 v5, v10, v7, vcc
	v_cmp_ne_u32_e32 vcc, 0, v4
	v_cndmask_b32_e32 v3, v3, v5, vcc
	v_xor_b32_e32 v4, s28, v8
	v_xor_b32_e32 v3, v3, v4
	v_sub_co_u32_e32 v6, vcc, v3, v4
                                        ; implicit-def: $vgpr4_vgpr5
.LBB43_14:                              ;   in Loop: Header=BB43_4 Depth=1
	s_andn2_saveexec_b64 s[2:3], s[26:27]
	s_cbranch_execz .LBB43_2
; %bb.15:                               ;   in Loop: Header=BB43_4 Depth=1
	v_cvt_f32_u32_e32 v3, s33
	s_sub_i32 s26, 0, s33
	v_rcp_iflag_f32_e32 v3, v3
	v_mul_f32_e32 v3, 0x4f7ffffe, v3
	v_cvt_u32_f32_e32 v3, v3
	v_mul_lo_u32 v5, s26, v3
	v_mul_hi_u32 v5, v3, v5
	v_add_u32_e32 v3, v3, v5
	v_mul_hi_u32 v3, v4, v3
	v_mul_lo_u32 v5, v3, s33
	v_sub_u32_e32 v4, v4, v5
	v_add_u32_e32 v6, 1, v3
	v_subrev_u32_e32 v5, s33, v4
	v_cmp_le_u32_e32 vcc, s33, v4
	v_cndmask_b32_e32 v4, v4, v5, vcc
	v_cndmask_b32_e32 v3, v3, v6, vcc
	v_add_u32_e32 v5, 1, v3
	v_cmp_le_u32_e32 vcc, s33, v4
	v_cndmask_b32_e32 v6, v3, v5, vcc
	s_branch .LBB43_2
.LBB43_16:
	s_endpgm
	.section	.rodata,"a",@progbits
	.p2align	6, 0x0
	.amdhsa_kernel _ZN2at4cuda17kernelHistogram1DIlllLi1ELi2ELin1ELNS0_23CUDAHistogramMemoryTypeE1EZNS0_21CUDA_tensor_histogramIllLb0EEEbNS_6TensorES4_S4_lNS_14AccumulateTypeIT0_Lb1EE4typeES8_NS0_13TensorArgTypeES9_S9_EUllE0_EEvNS0_6detail10TensorInfoIT_T1_EESF_NSC_IKS6_SE_EElS8_S8_SE_T6_
		.amdhsa_group_segment_fixed_size 0
		.amdhsa_private_segment_fixed_size 0
		.amdhsa_kernarg_size 1544
		.amdhsa_user_sgpr_count 6
		.amdhsa_user_sgpr_private_segment_buffer 1
		.amdhsa_user_sgpr_dispatch_ptr 0
		.amdhsa_user_sgpr_queue_ptr 0
		.amdhsa_user_sgpr_kernarg_segment_ptr 1
		.amdhsa_user_sgpr_dispatch_id 0
		.amdhsa_user_sgpr_flat_scratch_init 0
		.amdhsa_user_sgpr_kernarg_preload_length 0
		.amdhsa_user_sgpr_kernarg_preload_offset 0
		.amdhsa_user_sgpr_private_segment_size 0
		.amdhsa_uses_dynamic_stack 0
		.amdhsa_system_sgpr_private_segment_wavefront_offset 0
		.amdhsa_system_sgpr_workgroup_id_x 1
		.amdhsa_system_sgpr_workgroup_id_y 0
		.amdhsa_system_sgpr_workgroup_id_z 0
		.amdhsa_system_sgpr_workgroup_info 0
		.amdhsa_system_vgpr_workitem_id 0
		.amdhsa_next_free_vgpr 18
		.amdhsa_next_free_sgpr 41
		.amdhsa_accum_offset 20
		.amdhsa_reserve_vcc 1
		.amdhsa_reserve_flat_scratch 0
		.amdhsa_float_round_mode_32 0
		.amdhsa_float_round_mode_16_64 0
		.amdhsa_float_denorm_mode_32 3
		.amdhsa_float_denorm_mode_16_64 3
		.amdhsa_dx10_clamp 1
		.amdhsa_ieee_mode 1
		.amdhsa_fp16_overflow 0
		.amdhsa_tg_split 0
		.amdhsa_exception_fp_ieee_invalid_op 0
		.amdhsa_exception_fp_denorm_src 0
		.amdhsa_exception_fp_ieee_div_zero 0
		.amdhsa_exception_fp_ieee_overflow 0
		.amdhsa_exception_fp_ieee_underflow 0
		.amdhsa_exception_fp_ieee_inexact 0
		.amdhsa_exception_int_div_zero 0
	.end_amdhsa_kernel
	.section	.text._ZN2at4cuda17kernelHistogram1DIlllLi1ELi2ELin1ELNS0_23CUDAHistogramMemoryTypeE1EZNS0_21CUDA_tensor_histogramIllLb0EEEbNS_6TensorES4_S4_lNS_14AccumulateTypeIT0_Lb1EE4typeES8_NS0_13TensorArgTypeES9_S9_EUllE0_EEvNS0_6detail10TensorInfoIT_T1_EESF_NSC_IKS6_SE_EElS8_S8_SE_T6_,"axG",@progbits,_ZN2at4cuda17kernelHistogram1DIlllLi1ELi2ELin1ELNS0_23CUDAHistogramMemoryTypeE1EZNS0_21CUDA_tensor_histogramIllLb0EEEbNS_6TensorES4_S4_lNS_14AccumulateTypeIT0_Lb1EE4typeES8_NS0_13TensorArgTypeES9_S9_EUllE0_EEvNS0_6detail10TensorInfoIT_T1_EESF_NSC_IKS6_SE_EElS8_S8_SE_T6_,comdat
.Lfunc_end43:
	.size	_ZN2at4cuda17kernelHistogram1DIlllLi1ELi2ELin1ELNS0_23CUDAHistogramMemoryTypeE1EZNS0_21CUDA_tensor_histogramIllLb0EEEbNS_6TensorES4_S4_lNS_14AccumulateTypeIT0_Lb1EE4typeES8_NS0_13TensorArgTypeES9_S9_EUllE0_EEvNS0_6detail10TensorInfoIT_T1_EESF_NSC_IKS6_SE_EElS8_S8_SE_T6_, .Lfunc_end43-_ZN2at4cuda17kernelHistogram1DIlllLi1ELi2ELin1ELNS0_23CUDAHistogramMemoryTypeE1EZNS0_21CUDA_tensor_histogramIllLb0EEEbNS_6TensorES4_S4_lNS_14AccumulateTypeIT0_Lb1EE4typeES8_NS0_13TensorArgTypeES9_S9_EUllE0_EEvNS0_6detail10TensorInfoIT_T1_EESF_NSC_IKS6_SE_EElS8_S8_SE_T6_
                                        ; -- End function
	.section	.AMDGPU.csdata,"",@progbits
; Kernel info:
; codeLenInByte = 2216
; NumSgprs: 45
; NumVgprs: 18
; NumAgprs: 0
; TotalNumVgprs: 18
; ScratchSize: 0
; MemoryBound: 0
; FloatMode: 240
; IeeeMode: 1
; LDSByteSize: 0 bytes/workgroup (compile time only)
; SGPRBlocks: 5
; VGPRBlocks: 2
; NumSGPRsForWavesPerEU: 45
; NumVGPRsForWavesPerEU: 18
; AccumOffset: 20
; Occupancy: 8
; WaveLimiterHint : 1
; COMPUTE_PGM_RSRC2:SCRATCH_EN: 0
; COMPUTE_PGM_RSRC2:USER_SGPR: 6
; COMPUTE_PGM_RSRC2:TRAP_HANDLER: 0
; COMPUTE_PGM_RSRC2:TGID_X_EN: 1
; COMPUTE_PGM_RSRC2:TGID_Y_EN: 0
; COMPUTE_PGM_RSRC2:TGID_Z_EN: 0
; COMPUTE_PGM_RSRC2:TIDIG_COMP_CNT: 0
; COMPUTE_PGM_RSRC3_GFX90A:ACCUM_OFFSET: 4
; COMPUTE_PGM_RSRC3_GFX90A:TG_SPLIT: 0
	.section	.text._ZN2at4cuda17kernelHistogram1DIdllLi1ELi2ELin1ELNS0_23CUDAHistogramMemoryTypeE0EZNS0_21CUDA_tensor_histogramIdlLb1EEEbNS_6TensorES4_S4_lNS_14AccumulateTypeIT0_Lb1EE4typeES8_NS0_13TensorArgTypeES9_S9_EUllE_EEvNS0_6detail10TensorInfoIT_T1_EESF_NSC_IKS6_SE_EElS8_S8_SE_T6_,"axG",@progbits,_ZN2at4cuda17kernelHistogram1DIdllLi1ELi2ELin1ELNS0_23CUDAHistogramMemoryTypeE0EZNS0_21CUDA_tensor_histogramIdlLb1EEEbNS_6TensorES4_S4_lNS_14AccumulateTypeIT0_Lb1EE4typeES8_NS0_13TensorArgTypeES9_S9_EUllE_EEvNS0_6detail10TensorInfoIT_T1_EESF_NSC_IKS6_SE_EElS8_S8_SE_T6_,comdat
	.protected	_ZN2at4cuda17kernelHistogram1DIdllLi1ELi2ELin1ELNS0_23CUDAHistogramMemoryTypeE0EZNS0_21CUDA_tensor_histogramIdlLb1EEEbNS_6TensorES4_S4_lNS_14AccumulateTypeIT0_Lb1EE4typeES8_NS0_13TensorArgTypeES9_S9_EUllE_EEvNS0_6detail10TensorInfoIT_T1_EESF_NSC_IKS6_SE_EElS8_S8_SE_T6_ ; -- Begin function _ZN2at4cuda17kernelHistogram1DIdllLi1ELi2ELin1ELNS0_23CUDAHistogramMemoryTypeE0EZNS0_21CUDA_tensor_histogramIdlLb1EEEbNS_6TensorES4_S4_lNS_14AccumulateTypeIT0_Lb1EE4typeES8_NS0_13TensorArgTypeES9_S9_EUllE_EEvNS0_6detail10TensorInfoIT_T1_EESF_NSC_IKS6_SE_EElS8_S8_SE_T6_
	.globl	_ZN2at4cuda17kernelHistogram1DIdllLi1ELi2ELin1ELNS0_23CUDAHistogramMemoryTypeE0EZNS0_21CUDA_tensor_histogramIdlLb1EEEbNS_6TensorES4_S4_lNS_14AccumulateTypeIT0_Lb1EE4typeES8_NS0_13TensorArgTypeES9_S9_EUllE_EEvNS0_6detail10TensorInfoIT_T1_EESF_NSC_IKS6_SE_EElS8_S8_SE_T6_
	.p2align	8
	.type	_ZN2at4cuda17kernelHistogram1DIdllLi1ELi2ELin1ELNS0_23CUDAHistogramMemoryTypeE0EZNS0_21CUDA_tensor_histogramIdlLb1EEEbNS_6TensorES4_S4_lNS_14AccumulateTypeIT0_Lb1EE4typeES8_NS0_13TensorArgTypeES9_S9_EUllE_EEvNS0_6detail10TensorInfoIT_T1_EESF_NSC_IKS6_SE_EElS8_S8_SE_T6_,@function
_ZN2at4cuda17kernelHistogram1DIdllLi1ELi2ELin1ELNS0_23CUDAHistogramMemoryTypeE0EZNS0_21CUDA_tensor_histogramIdlLb1EEEbNS_6TensorES4_S4_lNS_14AccumulateTypeIT0_Lb1EE4typeES8_NS0_13TensorArgTypeES9_S9_EUllE_EEvNS0_6detail10TensorInfoIT_T1_EESF_NSC_IKS6_SE_EElS8_S8_SE_T6_: ; @_ZN2at4cuda17kernelHistogram1DIdllLi1ELi2ELin1ELNS0_23CUDAHistogramMemoryTypeE0EZNS0_21CUDA_tensor_histogramIdlLb1EEEbNS_6TensorES4_S4_lNS_14AccumulateTypeIT0_Lb1EE4typeES8_NS0_13TensorArgTypeES9_S9_EUllE_EEvNS0_6detail10TensorInfoIT_T1_EESF_NSC_IKS6_SE_EElS8_S8_SE_T6_
; %bb.0:
	s_load_dwordx4 s[16:19], s[4:5], 0x0
	s_load_dwordx2 s[20:21], s[4:5], 0x500
	s_load_dwordx8 s[8:15], s[4:5], 0x4e0
	v_mov_b32_e32 v1, 0
	s_add_u32 s2, s4, 0x6a0
	s_waitcnt lgkmcnt(0)
	v_cmp_gt_i64_e64 s[0:1], s[18:19], v[0:1]
	v_cmp_le_i64_e32 vcc, s[18:19], v[0:1]
	s_addc_u32 s3, s5, 0
                                        ; implicit-def: $sgpr7
                                        ; implicit-def: $sgpr28
	s_and_saveexec_b64 s[22:23], vcc
	s_xor_b64 s[22:23], exec, s[22:23]
	s_cbranch_execz .LBB44_2
; %bb.1:
	s_load_dword s7, s[2:3], 0xc
	s_waitcnt lgkmcnt(0)
	s_and_b32 s28, s7, 0xffff
.LBB44_2:
	s_or_saveexec_b64 s[26:27], s[22:23]
	s_load_dwordx2 s[22:23], s[4:5], 0xd0
	s_load_dwordx2 s[24:25], s[4:5], 0x5d0
	v_mov_b32_e32 v7, s7
	v_mov_b32_e32 v15, s28
	v_lshl_add_u32 v14, v0, 3, 0
	s_xor_b64 exec, exec, s[26:27]
	s_cbranch_execz .LBB44_6
; %bb.3:
	s_load_dword s7, s[2:3], 0xc
	s_mov_b32 s33, 0
	v_mov_b32_e32 v2, 0
	v_lshl_add_u32 v6, v0, 3, 0
	s_mov_b64 s[28:29], 0
	s_waitcnt lgkmcnt(0)
	s_and_b32 s30, s7, 0xffff
	s_lshl_b32 s31, s30, 3
	v_mov_b32_e32 v3, v2
	v_mov_b32_e32 v7, s33
	v_pk_mov_b32 v[4:5], v[0:1], v[0:1] op_sel:[0,1]
.LBB44_4:                               ; =>This Inner Loop Header: Depth=1
	v_add_co_u32_e32 v4, vcc, s30, v4
	v_addc_co_u32_e32 v5, vcc, v5, v7, vcc
	v_cmp_le_i64_e32 vcc, s[18:19], v[4:5]
	ds_write_b64 v6, v[2:3]
	s_or_b64 s[28:29], vcc, s[28:29]
	v_add_u32_e32 v6, s31, v6
	s_andn2_b64 exec, exec, s[28:29]
	s_cbranch_execnz .LBB44_4
; %bb.5:
	s_or_b64 exec, exec, s[28:29]
	v_mov_b32_e32 v7, s7
	v_mov_b32_e32 v15, s30
.LBB44_6:
	s_or_b64 exec, exec, s[26:27]
	v_mad_u64_u32 v[2:3], s[6:7], s6, v15, v[0:1]
	v_mov_b32_e32 v4, 0
	v_mov_b32_e32 v3, v4
	v_cmp_gt_i64_e32 vcc, s[14:15], v[2:3]
	s_waitcnt lgkmcnt(0)
	s_barrier
	s_and_saveexec_b64 s[6:7], vcc
	s_cbranch_execz .LBB44_22
; %bb.7:
	s_load_dword s30, s[4:5], 0x4d8
	s_load_dwordx2 s[26:27], s[4:5], 0x410
	s_load_dwordx2 s[28:29], s[4:5], 0x340
	s_add_u32 s31, s4, 0x340
	s_addc_u32 s35, s5, 0
	s_waitcnt lgkmcnt(0)
	s_cmp_gt_i32 s30, 1
	s_load_dword s34, s[2:3], 0x0
	s_cselect_b64 s[2:3], -1, 0
	s_sub_u32 s33, s12, s10
	s_subb_u32 s48, s13, s11
	s_mov_b32 s5, 0
	s_add_i32 s4, s30, -1
	s_add_i32 s49, s30, 1
	s_lshl_b64 s[4:5], s[4:5], 3
	s_add_u32 s4, s4, s31
	s_addc_u32 s5, s5, s35
	s_add_u32 s30, s4, 8
	v_cndmask_b32_e64 v5, 0, 1, s[2:3]
	s_waitcnt lgkmcnt(0)
	v_mul_lo_u32 v6, s34, v15
	s_addc_u32 s31, s5, 0
	s_mov_b64 s[34:35], 0
	v_cmp_ne_u32_e64 s[2:3], 1, v5
	s_mov_b64 s[36:37], src_shared_base
	s_branch .LBB44_10
.LBB44_8:                               ;   in Loop: Header=BB44_10 Depth=1
	s_or_b64 exec, exec, s[4:5]
	v_mul_lo_u32 v5, v3, s24
	v_mul_lo_u32 v11, v2, s25
	v_mad_u64_u32 v[8:9], s[4:5], v2, s24, 0
	v_add3_u32 v9, v9, v11, v5
	v_lshlrev_b64 v[8:9], 3, v[8:9]
	v_mov_b32_e32 v5, s21
	v_add_co_u32_e32 v8, vcc, s20, v8
	v_addc_co_u32_e32 v9, vcc, v5, v9, vcc
	global_load_dwordx2 v[8:9], v[8:9], off
	v_ashrrev_i32_e32 v11, 31, v10
	v_cmp_eq_u64_e32 vcc, s[8:9], v[10:11]
	v_subbrev_co_u32_e32 v5, vcc, 0, v10, vcc
	v_lshl_add_u32 v10, v5, 3, 0
	v_mov_b32_e32 v11, s37
	s_waitcnt vmcnt(0)
	flat_atomic_add_f64 v[10:11], v[8:9]
.LBB44_9:                               ;   in Loop: Header=BB44_10 Depth=1
	s_or_b64 exec, exec, s[38:39]
	v_add_co_u32_e32 v2, vcc, v2, v6
	v_addc_co_u32_e32 v3, vcc, 0, v3, vcc
	v_cmp_le_i64_e32 vcc, s[14:15], v[2:3]
	s_or_b64 s[34:35], vcc, s[34:35]
	s_andn2_b64 exec, exec, s[34:35]
	s_cbranch_execz .LBB44_22
.LBB44_10:                              ; =>This Loop Header: Depth=1
                                        ;     Child Loop BB44_11 Depth 2
	s_and_b64 vcc, exec, s[2:3]
	v_pk_mov_b32 v[8:9], 0, 0
	s_mov_b64 s[38:39], s[30:31]
	s_mov_b32 s36, s49
	v_pk_mov_b32 v[10:11], v[2:3], v[2:3] op_sel:[0,1]
	v_pk_mov_b32 v[12:13], v[2:3], v[2:3] op_sel:[0,1]
	s_cbranch_vccnz .LBB44_17
.LBB44_11:                              ;   Parent Loop BB44_10 Depth=1
                                        ; =>  This Inner Loop Header: Depth=2
	s_load_dwordx2 s[40:41], s[38:39], 0x0
                                        ; implicit-def: $vgpr12_vgpr13
	s_waitcnt lgkmcnt(0)
	v_or_b32_e32 v5, s41, v11
	v_cmp_ne_u64_e32 vcc, 0, v[4:5]
	s_and_saveexec_b64 s[4:5], vcc
	s_xor_b64 s[42:43], exec, s[4:5]
	s_cbranch_execz .LBB44_13
; %bb.12:                               ;   in Loop: Header=BB44_11 Depth=2
	s_ashr_i32 s44, s41, 31
	s_add_u32 s4, s40, s44
	s_mov_b32 s45, s44
	s_addc_u32 s5, s41, s44
	s_xor_b64 s[46:47], s[4:5], s[44:45]
	v_cvt_f32_u32_e32 v5, s46
	v_cvt_f32_u32_e32 v12, s47
	s_sub_u32 s4, 0, s46
	s_subb_u32 s5, 0, s47
	v_mac_f32_e32 v5, 0x4f800000, v12
	v_rcp_f32_e32 v5, v5
	v_mul_f32_e32 v5, 0x5f7ffffc, v5
	v_mul_f32_e32 v12, 0x2f800000, v5
	v_trunc_f32_e32 v12, v12
	v_mac_f32_e32 v5, 0xcf800000, v12
	v_cvt_u32_f32_e32 v12, v12
	v_cvt_u32_f32_e32 v5, v5
	v_mul_lo_u32 v13, s4, v12
	v_mul_hi_u32 v17, s4, v5
	v_mul_lo_u32 v16, s5, v5
	v_add_u32_e32 v13, v17, v13
	v_mul_lo_u32 v18, s4, v5
	v_add_u32_e32 v13, v13, v16
	v_mul_lo_u32 v17, v5, v13
	v_mul_hi_u32 v19, v5, v18
	v_mul_hi_u32 v16, v5, v13
	v_add_co_u32_e32 v17, vcc, v19, v17
	v_addc_co_u32_e32 v16, vcc, 0, v16, vcc
	v_mul_hi_u32 v20, v12, v18
	v_mul_lo_u32 v18, v12, v18
	v_add_co_u32_e32 v17, vcc, v17, v18
	v_mul_hi_u32 v19, v12, v13
	v_addc_co_u32_e32 v16, vcc, v16, v20, vcc
	v_addc_co_u32_e32 v17, vcc, 0, v19, vcc
	v_mul_lo_u32 v13, v12, v13
	v_add_co_u32_e32 v13, vcc, v16, v13
	v_addc_co_u32_e32 v16, vcc, 0, v17, vcc
	v_add_co_u32_e32 v5, vcc, v5, v13
	v_addc_co_u32_e32 v12, vcc, v12, v16, vcc
	v_mul_lo_u32 v13, s4, v12
	v_mul_hi_u32 v16, s4, v5
	v_add_u32_e32 v13, v16, v13
	v_mul_lo_u32 v16, s5, v5
	v_add_u32_e32 v13, v13, v16
	v_mul_lo_u32 v17, s4, v5
	v_mul_hi_u32 v18, v12, v17
	v_mul_lo_u32 v19, v12, v17
	v_mul_lo_u32 v21, v5, v13
	v_mul_hi_u32 v17, v5, v17
	v_mul_hi_u32 v20, v5, v13
	v_add_co_u32_e32 v17, vcc, v17, v21
	v_addc_co_u32_e32 v20, vcc, 0, v20, vcc
	v_add_co_u32_e32 v17, vcc, v17, v19
	v_mul_hi_u32 v16, v12, v13
	v_addc_co_u32_e32 v17, vcc, v20, v18, vcc
	v_addc_co_u32_e32 v16, vcc, 0, v16, vcc
	v_mul_lo_u32 v13, v12, v13
	v_add_co_u32_e32 v13, vcc, v17, v13
	v_addc_co_u32_e32 v16, vcc, 0, v16, vcc
	v_add_co_u32_e32 v5, vcc, v5, v13
	v_addc_co_u32_e32 v16, vcc, v12, v16, vcc
	v_ashrrev_i32_e32 v18, 31, v11
	v_add_co_u32_e32 v12, vcc, v10, v18
	v_addc_co_u32_e32 v13, vcc, v11, v18, vcc
	v_xor_b32_e32 v20, v12, v18
	v_xor_b32_e32 v19, v13, v18
	v_mad_u64_u32 v[12:13], s[4:5], v20, v16, 0
	v_mul_hi_u32 v17, v20, v5
	v_add_co_u32_e32 v21, vcc, v17, v12
	v_addc_co_u32_e32 v22, vcc, 0, v13, vcc
	v_mad_u64_u32 v[12:13], s[4:5], v19, v16, 0
	v_mad_u64_u32 v[16:17], s[4:5], v19, v5, 0
	v_add_co_u32_e32 v5, vcc, v21, v16
	v_addc_co_u32_e32 v5, vcc, v22, v17, vcc
	v_addc_co_u32_e32 v13, vcc, 0, v13, vcc
	v_add_co_u32_e32 v5, vcc, v5, v12
	v_addc_co_u32_e32 v16, vcc, 0, v13, vcc
	v_mul_lo_u32 v17, s47, v5
	v_mul_lo_u32 v21, s46, v16
	v_mad_u64_u32 v[12:13], s[4:5], s46, v5, 0
	v_add3_u32 v13, v13, v21, v17
	v_sub_u32_e32 v17, v19, v13
	v_mov_b32_e32 v21, s47
	v_sub_co_u32_e32 v12, vcc, v20, v12
	v_subb_co_u32_e64 v17, s[4:5], v17, v21, vcc
	v_subrev_co_u32_e64 v20, s[4:5], s46, v12
	v_subbrev_co_u32_e64 v17, s[4:5], 0, v17, s[4:5]
	v_cmp_le_u32_e64 s[4:5], s47, v17
	v_cndmask_b32_e64 v21, 0, -1, s[4:5]
	v_cmp_le_u32_e64 s[4:5], s46, v20
	v_cndmask_b32_e64 v20, 0, -1, s[4:5]
	v_cmp_eq_u32_e64 s[4:5], s47, v17
	v_cndmask_b32_e64 v17, v21, v20, s[4:5]
	v_add_co_u32_e64 v20, s[4:5], 2, v5
	v_subb_co_u32_e32 v13, vcc, v19, v13, vcc
	v_addc_co_u32_e64 v21, s[4:5], 0, v16, s[4:5]
	v_cmp_le_u32_e32 vcc, s47, v13
	v_add_co_u32_e64 v22, s[4:5], 1, v5
	v_cndmask_b32_e64 v19, 0, -1, vcc
	v_cmp_le_u32_e32 vcc, s46, v12
	v_addc_co_u32_e64 v23, s[4:5], 0, v16, s[4:5]
	v_cndmask_b32_e64 v12, 0, -1, vcc
	v_cmp_eq_u32_e32 vcc, s47, v13
	v_cmp_ne_u32_e64 s[4:5], 0, v17
	v_cndmask_b32_e32 v12, v19, v12, vcc
	v_cmp_ne_u32_e32 vcc, 0, v12
	v_cndmask_b32_e64 v13, v22, v20, s[4:5]
	v_cndmask_b32_e64 v17, v23, v21, s[4:5]
	v_cndmask_b32_e32 v5, v5, v13, vcc
	v_xor_b32_e32 v13, s44, v18
	v_cndmask_b32_e32 v12, v16, v17, vcc
	v_xor_b32_e32 v5, v5, v13
	v_xor_b32_e32 v16, v12, v13
	v_sub_co_u32_e32 v12, vcc, v5, v13
	v_subb_co_u32_e32 v13, vcc, v16, v13, vcc
.LBB44_13:                              ;   in Loop: Header=BB44_11 Depth=2
	s_andn2_saveexec_b64 s[4:5], s[42:43]
	s_cbranch_execz .LBB44_15
; %bb.14:                               ;   in Loop: Header=BB44_11 Depth=2
	v_cvt_f32_u32_e32 v5, s40
	s_sub_i32 s42, 0, s40
	v_rcp_iflag_f32_e32 v5, v5
	v_mul_f32_e32 v5, 0x4f7ffffe, v5
	v_cvt_u32_f32_e32 v5, v5
	v_mul_lo_u32 v12, s42, v5
	v_mul_hi_u32 v12, v5, v12
	v_add_u32_e32 v5, v5, v12
	v_mul_hi_u32 v5, v10, v5
	v_mul_lo_u32 v12, v5, s40
	v_sub_u32_e32 v12, v10, v12
	v_add_u32_e32 v13, 1, v5
	v_subrev_u32_e32 v16, s40, v12
	v_cmp_le_u32_e32 vcc, s40, v12
	v_cndmask_b32_e32 v12, v12, v16, vcc
	v_cndmask_b32_e32 v5, v5, v13, vcc
	v_add_u32_e32 v13, 1, v5
	v_cmp_le_u32_e32 vcc, s40, v12
	v_cndmask_b32_e32 v12, v5, v13, vcc
	v_mov_b32_e32 v13, v4
.LBB44_15:                              ;   in Loop: Header=BB44_11 Depth=2
	s_or_b64 exec, exec, s[4:5]
	v_mad_u64_u32 v[16:17], s[4:5], v12, s40, 0
	s_load_dwordx2 s[4:5], s[38:39], 0xc8
	v_mul_lo_u32 v5, v13, s40
	v_mul_lo_u32 v18, v12, s41
	v_add3_u32 v5, v17, v18, v5
	v_sub_co_u32_e32 v10, vcc, v10, v16
	s_add_i32 s36, s36, -1
	v_subb_co_u32_e32 v5, vcc, v11, v5, vcc
	s_add_u32 s38, s38, -8
	s_waitcnt lgkmcnt(0)
	v_mul_lo_u32 v5, s4, v5
	v_mul_lo_u32 v11, s5, v10
	v_mad_u64_u32 v[8:9], s[4:5], s4, v10, v[8:9]
	s_addc_u32 s39, s39, -1
	s_cmp_gt_u32 s36, 2
	v_add3_u32 v9, v11, v9, v5
	s_cbranch_scc0 .LBB44_17
; %bb.16:                               ;   in Loop: Header=BB44_11 Depth=2
	v_pk_mov_b32 v[10:11], v[12:13], v[12:13] op_sel:[0,1]
	s_branch .LBB44_11
.LBB44_17:                              ;   in Loop: Header=BB44_10 Depth=1
	v_mul_lo_u32 v5, s27, v12
	v_mul_lo_u32 v13, s26, v13
	v_mad_u64_u32 v[10:11], s[4:5], s26, v12, 0
	v_add3_u32 v11, v11, v13, v5
	v_lshlrev_b64 v[10:11], 3, v[10:11]
	v_mov_b32_e32 v5, s29
	v_add_co_u32_e32 v10, vcc, s28, v10
	v_addc_co_u32_e32 v5, vcc, v5, v11, vcc
	v_lshlrev_b64 v[8:9], 3, v[8:9]
	v_add_co_u32_e32 v8, vcc, v10, v8
	v_addc_co_u32_e32 v9, vcc, v5, v9, vcc
	global_load_dwordx2 v[8:9], v[8:9], off
	s_waitcnt vmcnt(0)
	v_cmp_le_i64_e32 vcc, s[10:11], v[8:9]
	v_cmp_ge_i64_e64 s[4:5], s[12:13], v[8:9]
	s_and_b64 s[4:5], vcc, s[4:5]
	s_and_saveexec_b64 s[38:39], s[4:5]
	s_cbranch_execz .LBB44_9
; %bb.18:                               ;   in Loop: Header=BB44_10 Depth=1
	v_mov_b32_e32 v5, s11
	v_subrev_co_u32_e32 v8, vcc, s10, v8
	v_subb_co_u32_e32 v5, vcc, v9, v5, vcc
	v_mul_lo_u32 v5, v5, s8
	v_mul_lo_u32 v10, v8, s9
	v_mad_u64_u32 v[8:9], s[4:5], v8, s8, 0
	v_add3_u32 v9, v9, v10, v5
	v_or_b32_e32 v5, s48, v9
	v_cmp_ne_u64_e32 vcc, 0, v[4:5]
                                        ; implicit-def: $vgpr10_vgpr11
	s_and_saveexec_b64 s[4:5], vcc
	s_xor_b64 s[40:41], exec, s[4:5]
	s_cbranch_execz .LBB44_20
; %bb.19:                               ;   in Loop: Header=BB44_10 Depth=1
	s_ashr_i32 s42, s48, 31
	s_add_u32 s4, s33, s42
	s_mov_b32 s43, s42
	s_addc_u32 s5, s48, s42
	s_xor_b64 s[44:45], s[4:5], s[42:43]
	v_cvt_f32_u32_e32 v5, s44
	v_cvt_f32_u32_e32 v10, s45
	s_sub_u32 s4, 0, s44
	s_subb_u32 s5, 0, s45
	v_mac_f32_e32 v5, 0x4f800000, v10
	v_rcp_f32_e32 v5, v5
	v_mul_f32_e32 v5, 0x5f7ffffc, v5
	v_mul_f32_e32 v10, 0x2f800000, v5
	v_trunc_f32_e32 v10, v10
	v_mac_f32_e32 v5, 0xcf800000, v10
	v_cvt_u32_f32_e32 v10, v10
	v_cvt_u32_f32_e32 v5, v5
	v_mul_lo_u32 v11, s4, v10
	v_mul_hi_u32 v13, s4, v5
	v_mul_lo_u32 v12, s5, v5
	v_add_u32_e32 v11, v13, v11
	v_mul_lo_u32 v16, s4, v5
	v_add_u32_e32 v11, v11, v12
	v_mul_lo_u32 v13, v5, v11
	v_mul_hi_u32 v17, v5, v16
	v_mul_hi_u32 v12, v5, v11
	v_add_co_u32_e32 v13, vcc, v17, v13
	v_addc_co_u32_e32 v12, vcc, 0, v12, vcc
	v_mul_hi_u32 v18, v10, v16
	v_mul_lo_u32 v16, v10, v16
	v_add_co_u32_e32 v13, vcc, v13, v16
	v_mul_hi_u32 v17, v10, v11
	v_addc_co_u32_e32 v12, vcc, v12, v18, vcc
	v_addc_co_u32_e32 v13, vcc, 0, v17, vcc
	v_mul_lo_u32 v11, v10, v11
	v_add_co_u32_e32 v11, vcc, v12, v11
	v_addc_co_u32_e32 v12, vcc, 0, v13, vcc
	v_add_co_u32_e32 v5, vcc, v5, v11
	v_addc_co_u32_e32 v10, vcc, v10, v12, vcc
	v_mul_lo_u32 v11, s4, v10
	v_mul_hi_u32 v12, s4, v5
	v_add_u32_e32 v11, v12, v11
	v_mul_lo_u32 v12, s5, v5
	v_add_u32_e32 v11, v11, v12
	v_mul_lo_u32 v13, s4, v5
	v_mul_hi_u32 v16, v10, v13
	v_mul_lo_u32 v17, v10, v13
	v_mul_lo_u32 v19, v5, v11
	v_mul_hi_u32 v13, v5, v13
	v_mul_hi_u32 v18, v5, v11
	v_add_co_u32_e32 v13, vcc, v13, v19
	v_addc_co_u32_e32 v18, vcc, 0, v18, vcc
	v_add_co_u32_e32 v13, vcc, v13, v17
	v_mul_hi_u32 v12, v10, v11
	v_addc_co_u32_e32 v13, vcc, v18, v16, vcc
	v_addc_co_u32_e32 v12, vcc, 0, v12, vcc
	v_mul_lo_u32 v11, v10, v11
	v_add_co_u32_e32 v11, vcc, v13, v11
	v_addc_co_u32_e32 v12, vcc, 0, v12, vcc
	v_add_co_u32_e32 v5, vcc, v5, v11
	v_addc_co_u32_e32 v10, vcc, v10, v12, vcc
	v_ashrrev_i32_e32 v12, 31, v9
	v_add_co_u32_e32 v8, vcc, v8, v12
	v_addc_co_u32_e32 v9, vcc, v9, v12, vcc
	v_xor_b32_e32 v16, v8, v12
	v_xor_b32_e32 v13, v9, v12
	v_mad_u64_u32 v[8:9], s[4:5], v16, v10, 0
	v_mul_hi_u32 v11, v16, v5
	v_add_co_u32_e32 v17, vcc, v11, v8
	v_addc_co_u32_e32 v18, vcc, 0, v9, vcc
	v_mad_u64_u32 v[8:9], s[4:5], v13, v10, 0
	v_mad_u64_u32 v[10:11], s[4:5], v13, v5, 0
	v_add_co_u32_e32 v5, vcc, v17, v10
	v_addc_co_u32_e32 v5, vcc, v18, v11, vcc
	v_addc_co_u32_e32 v9, vcc, 0, v9, vcc
	v_add_co_u32_e32 v5, vcc, v5, v8
	v_addc_co_u32_e32 v8, vcc, 0, v9, vcc
	v_mul_lo_u32 v10, s45, v5
	v_mul_lo_u32 v11, s44, v8
	v_mad_u64_u32 v[8:9], s[4:5], s44, v5, 0
	v_add3_u32 v9, v9, v11, v10
	v_sub_u32_e32 v10, v13, v9
	v_mov_b32_e32 v11, s45
	v_sub_co_u32_e32 v8, vcc, v16, v8
	v_subb_co_u32_e64 v10, s[4:5], v10, v11, vcc
	v_subrev_co_u32_e64 v11, s[4:5], s44, v8
	v_subbrev_co_u32_e64 v10, s[4:5], 0, v10, s[4:5]
	v_cmp_le_u32_e64 s[4:5], s45, v10
	v_subb_co_u32_e32 v9, vcc, v13, v9, vcc
	v_cndmask_b32_e64 v16, 0, -1, s[4:5]
	v_cmp_le_u32_e64 s[4:5], s44, v11
	v_cmp_le_u32_e32 vcc, s45, v9
	v_cndmask_b32_e64 v11, 0, -1, s[4:5]
	v_cmp_eq_u32_e64 s[4:5], s45, v10
	v_cndmask_b32_e64 v13, 0, -1, vcc
	v_cmp_le_u32_e32 vcc, s44, v8
	v_cndmask_b32_e64 v10, v16, v11, s[4:5]
	v_cndmask_b32_e64 v8, 0, -1, vcc
	v_cmp_eq_u32_e32 vcc, s45, v9
	v_add_co_u32_e64 v11, s[4:5], 2, v5
	v_add_co_u32_e64 v16, s[4:5], 1, v5
	v_cndmask_b32_e32 v8, v13, v8, vcc
	v_cmp_ne_u32_e32 vcc, 0, v10
	v_cndmask_b32_e32 v9, v16, v11, vcc
	v_cmp_ne_u32_e32 vcc, 0, v8
	v_cndmask_b32_e32 v5, v5, v9, vcc
	v_xor_b32_e32 v8, s42, v12
	v_xor_b32_e32 v5, v5, v8
	v_sub_co_u32_e32 v10, vcc, v5, v8
                                        ; implicit-def: $vgpr8_vgpr9
.LBB44_20:                              ;   in Loop: Header=BB44_10 Depth=1
	s_andn2_saveexec_b64 s[4:5], s[40:41]
	s_cbranch_execz .LBB44_8
; %bb.21:                               ;   in Loop: Header=BB44_10 Depth=1
	v_cvt_f32_u32_e32 v5, s33
	s_sub_i32 s36, 0, s33
	v_rcp_iflag_f32_e32 v5, v5
	v_mul_f32_e32 v5, 0x4f7ffffe, v5
	v_cvt_u32_f32_e32 v5, v5
	v_mul_lo_u32 v9, s36, v5
	v_mul_hi_u32 v9, v5, v9
	v_add_u32_e32 v5, v5, v9
	v_mul_hi_u32 v5, v8, v5
	v_mul_lo_u32 v9, v5, s33
	v_sub_u32_e32 v8, v8, v9
	v_add_u32_e32 v10, 1, v5
	v_subrev_u32_e32 v9, s33, v8
	v_cmp_le_u32_e32 vcc, s33, v8
	v_cndmask_b32_e32 v8, v8, v9, vcc
	v_cndmask_b32_e32 v5, v5, v10, vcc
	v_add_u32_e32 v9, 1, v5
	v_cmp_le_u32_e32 vcc, s33, v8
	v_cndmask_b32_e32 v10, v5, v9, vcc
	s_branch .LBB44_8
.LBB44_22:
	s_or_b64 exec, exec, s[6:7]
; %bb.23:
	s_waitcnt lgkmcnt(0)
	s_barrier
	s_and_saveexec_b64 s[2:3], s[0:1]
	s_cbranch_execz .LBB44_26
; %bb.24:
	v_mad_u64_u32 v[4:5], s[0:1], s22, v0, 0
	v_mov_b32_e32 v6, v5
	v_and_b32_e32 v2, 0xffff, v7
	v_mad_u64_u32 v[6:7], s[0:1], s23, v0, v[6:7]
	v_mov_b32_e32 v5, v6
	v_mad_u64_u32 v[6:7], s[0:1], s22, v2, 0
	v_mov_b32_e32 v8, v7
	v_lshlrev_b64 v[4:5], 3, v[4:5]
	v_mad_u64_u32 v[8:9], s[0:1], s23, v2, v[8:9]
	v_mov_b32_e32 v3, s17
	v_add_co_u32_e32 v4, vcc, s16, v4
	v_mov_b32_e32 v7, v8
	v_addc_co_u32_e32 v5, vcc, v3, v5, vcc
	v_lshlrev_b64 v[6:7], 3, v[6:7]
	v_lshlrev_b32_e32 v3, 3, v15
	s_mov_b64 s[0:1], 0
.LBB44_25:                              ; =>This Inner Loop Header: Depth=1
	ds_read_b64 v[8:9], v14
	v_add_co_u32_e32 v0, vcc, v0, v2
	v_addc_co_u32_e32 v1, vcc, 0, v1, vcc
	s_waitcnt lgkmcnt(0)
	global_atomic_add_f64 v[4:5], v[8:9], off
	v_cmp_le_i64_e32 vcc, s[18:19], v[0:1]
	s_or_b64 s[0:1], vcc, s[0:1]
	v_add_co_u32_e32 v4, vcc, v4, v6
	v_add_u32_e32 v14, v14, v3
	v_addc_co_u32_e32 v5, vcc, v5, v7, vcc
	s_andn2_b64 exec, exec, s[0:1]
	s_cbranch_execnz .LBB44_25
.LBB44_26:
	s_endpgm
	.section	.rodata,"a",@progbits
	.p2align	6, 0x0
	.amdhsa_kernel _ZN2at4cuda17kernelHistogram1DIdllLi1ELi2ELin1ELNS0_23CUDAHistogramMemoryTypeE0EZNS0_21CUDA_tensor_histogramIdlLb1EEEbNS_6TensorES4_S4_lNS_14AccumulateTypeIT0_Lb1EE4typeES8_NS0_13TensorArgTypeES9_S9_EUllE_EEvNS0_6detail10TensorInfoIT_T1_EESF_NSC_IKS6_SE_EElS8_S8_SE_T6_
		.amdhsa_group_segment_fixed_size 0
		.amdhsa_private_segment_fixed_size 0
		.amdhsa_kernarg_size 1952
		.amdhsa_user_sgpr_count 6
		.amdhsa_user_sgpr_private_segment_buffer 1
		.amdhsa_user_sgpr_dispatch_ptr 0
		.amdhsa_user_sgpr_queue_ptr 0
		.amdhsa_user_sgpr_kernarg_segment_ptr 1
		.amdhsa_user_sgpr_dispatch_id 0
		.amdhsa_user_sgpr_flat_scratch_init 0
		.amdhsa_user_sgpr_kernarg_preload_length 0
		.amdhsa_user_sgpr_kernarg_preload_offset 0
		.amdhsa_user_sgpr_private_segment_size 0
		.amdhsa_uses_dynamic_stack 0
		.amdhsa_system_sgpr_private_segment_wavefront_offset 0
		.amdhsa_system_sgpr_workgroup_id_x 1
		.amdhsa_system_sgpr_workgroup_id_y 0
		.amdhsa_system_sgpr_workgroup_id_z 0
		.amdhsa_system_sgpr_workgroup_info 0
		.amdhsa_system_vgpr_workitem_id 0
		.amdhsa_next_free_vgpr 24
		.amdhsa_next_free_sgpr 50
		.amdhsa_accum_offset 24
		.amdhsa_reserve_vcc 1
		.amdhsa_reserve_flat_scratch 0
		.amdhsa_float_round_mode_32 0
		.amdhsa_float_round_mode_16_64 0
		.amdhsa_float_denorm_mode_32 3
		.amdhsa_float_denorm_mode_16_64 3
		.amdhsa_dx10_clamp 1
		.amdhsa_ieee_mode 1
		.amdhsa_fp16_overflow 0
		.amdhsa_tg_split 0
		.amdhsa_exception_fp_ieee_invalid_op 0
		.amdhsa_exception_fp_denorm_src 0
		.amdhsa_exception_fp_ieee_div_zero 0
		.amdhsa_exception_fp_ieee_overflow 0
		.amdhsa_exception_fp_ieee_underflow 0
		.amdhsa_exception_fp_ieee_inexact 0
		.amdhsa_exception_int_div_zero 0
	.end_amdhsa_kernel
	.section	.text._ZN2at4cuda17kernelHistogram1DIdllLi1ELi2ELin1ELNS0_23CUDAHistogramMemoryTypeE0EZNS0_21CUDA_tensor_histogramIdlLb1EEEbNS_6TensorES4_S4_lNS_14AccumulateTypeIT0_Lb1EE4typeES8_NS0_13TensorArgTypeES9_S9_EUllE_EEvNS0_6detail10TensorInfoIT_T1_EESF_NSC_IKS6_SE_EElS8_S8_SE_T6_,"axG",@progbits,_ZN2at4cuda17kernelHistogram1DIdllLi1ELi2ELin1ELNS0_23CUDAHistogramMemoryTypeE0EZNS0_21CUDA_tensor_histogramIdlLb1EEEbNS_6TensorES4_S4_lNS_14AccumulateTypeIT0_Lb1EE4typeES8_NS0_13TensorArgTypeES9_S9_EUllE_EEvNS0_6detail10TensorInfoIT_T1_EESF_NSC_IKS6_SE_EElS8_S8_SE_T6_,comdat
.Lfunc_end44:
	.size	_ZN2at4cuda17kernelHistogram1DIdllLi1ELi2ELin1ELNS0_23CUDAHistogramMemoryTypeE0EZNS0_21CUDA_tensor_histogramIdlLb1EEEbNS_6TensorES4_S4_lNS_14AccumulateTypeIT0_Lb1EE4typeES8_NS0_13TensorArgTypeES9_S9_EUllE_EEvNS0_6detail10TensorInfoIT_T1_EESF_NSC_IKS6_SE_EElS8_S8_SE_T6_, .Lfunc_end44-_ZN2at4cuda17kernelHistogram1DIdllLi1ELi2ELin1ELNS0_23CUDAHistogramMemoryTypeE0EZNS0_21CUDA_tensor_histogramIdlLb1EEEbNS_6TensorES4_S4_lNS_14AccumulateTypeIT0_Lb1EE4typeES8_NS0_13TensorArgTypeES9_S9_EUllE_EEvNS0_6detail10TensorInfoIT_T1_EESF_NSC_IKS6_SE_EElS8_S8_SE_T6_
                                        ; -- End function
	.section	.AMDGPU.csdata,"",@progbits
; Kernel info:
; codeLenInByte = 2584
; NumSgprs: 54
; NumVgprs: 24
; NumAgprs: 0
; TotalNumVgprs: 24
; ScratchSize: 0
; MemoryBound: 0
; FloatMode: 240
; IeeeMode: 1
; LDSByteSize: 0 bytes/workgroup (compile time only)
; SGPRBlocks: 6
; VGPRBlocks: 2
; NumSGPRsForWavesPerEU: 54
; NumVGPRsForWavesPerEU: 24
; AccumOffset: 24
; Occupancy: 8
; WaveLimiterHint : 1
; COMPUTE_PGM_RSRC2:SCRATCH_EN: 0
; COMPUTE_PGM_RSRC2:USER_SGPR: 6
; COMPUTE_PGM_RSRC2:TRAP_HANDLER: 0
; COMPUTE_PGM_RSRC2:TGID_X_EN: 1
; COMPUTE_PGM_RSRC2:TGID_Y_EN: 0
; COMPUTE_PGM_RSRC2:TGID_Z_EN: 0
; COMPUTE_PGM_RSRC2:TIDIG_COMP_CNT: 0
; COMPUTE_PGM_RSRC3_GFX90A:ACCUM_OFFSET: 5
; COMPUTE_PGM_RSRC3_GFX90A:TG_SPLIT: 0
	.section	.text._ZN2at4cuda17kernelHistogram1DIdllLi1ELi2ELin1ELNS0_23CUDAHistogramMemoryTypeE1EZNS0_21CUDA_tensor_histogramIdlLb1EEEbNS_6TensorES4_S4_lNS_14AccumulateTypeIT0_Lb1EE4typeES8_NS0_13TensorArgTypeES9_S9_EUllE_EEvNS0_6detail10TensorInfoIT_T1_EESF_NSC_IKS6_SE_EElS8_S8_SE_T6_,"axG",@progbits,_ZN2at4cuda17kernelHistogram1DIdllLi1ELi2ELin1ELNS0_23CUDAHistogramMemoryTypeE1EZNS0_21CUDA_tensor_histogramIdlLb1EEEbNS_6TensorES4_S4_lNS_14AccumulateTypeIT0_Lb1EE4typeES8_NS0_13TensorArgTypeES9_S9_EUllE_EEvNS0_6detail10TensorInfoIT_T1_EESF_NSC_IKS6_SE_EElS8_S8_SE_T6_,comdat
	.protected	_ZN2at4cuda17kernelHistogram1DIdllLi1ELi2ELin1ELNS0_23CUDAHistogramMemoryTypeE1EZNS0_21CUDA_tensor_histogramIdlLb1EEEbNS_6TensorES4_S4_lNS_14AccumulateTypeIT0_Lb1EE4typeES8_NS0_13TensorArgTypeES9_S9_EUllE_EEvNS0_6detail10TensorInfoIT_T1_EESF_NSC_IKS6_SE_EElS8_S8_SE_T6_ ; -- Begin function _ZN2at4cuda17kernelHistogram1DIdllLi1ELi2ELin1ELNS0_23CUDAHistogramMemoryTypeE1EZNS0_21CUDA_tensor_histogramIdlLb1EEEbNS_6TensorES4_S4_lNS_14AccumulateTypeIT0_Lb1EE4typeES8_NS0_13TensorArgTypeES9_S9_EUllE_EEvNS0_6detail10TensorInfoIT_T1_EESF_NSC_IKS6_SE_EElS8_S8_SE_T6_
	.globl	_ZN2at4cuda17kernelHistogram1DIdllLi1ELi2ELin1ELNS0_23CUDAHistogramMemoryTypeE1EZNS0_21CUDA_tensor_histogramIdlLb1EEEbNS_6TensorES4_S4_lNS_14AccumulateTypeIT0_Lb1EE4typeES8_NS0_13TensorArgTypeES9_S9_EUllE_EEvNS0_6detail10TensorInfoIT_T1_EESF_NSC_IKS6_SE_EElS8_S8_SE_T6_
	.p2align	8
	.type	_ZN2at4cuda17kernelHistogram1DIdllLi1ELi2ELin1ELNS0_23CUDAHistogramMemoryTypeE1EZNS0_21CUDA_tensor_histogramIdlLb1EEEbNS_6TensorES4_S4_lNS_14AccumulateTypeIT0_Lb1EE4typeES8_NS0_13TensorArgTypeES9_S9_EUllE_EEvNS0_6detail10TensorInfoIT_T1_EESF_NSC_IKS6_SE_EElS8_S8_SE_T6_,@function
_ZN2at4cuda17kernelHistogram1DIdllLi1ELi2ELin1ELNS0_23CUDAHistogramMemoryTypeE1EZNS0_21CUDA_tensor_histogramIdlLb1EEEbNS_6TensorES4_S4_lNS_14AccumulateTypeIT0_Lb1EE4typeES8_NS0_13TensorArgTypeES9_S9_EUllE_EEvNS0_6detail10TensorInfoIT_T1_EESF_NSC_IKS6_SE_EElS8_S8_SE_T6_: ; @_ZN2at4cuda17kernelHistogram1DIdllLi1ELi2ELin1ELNS0_23CUDAHistogramMemoryTypeE1EZNS0_21CUDA_tensor_histogramIdlLb1EEEbNS_6TensorES4_S4_lNS_14AccumulateTypeIT0_Lb1EE4typeES8_NS0_13TensorArgTypeES9_S9_EUllE_EEvNS0_6detail10TensorInfoIT_T1_EESF_NSC_IKS6_SE_EElS8_S8_SE_T6_
; %bb.0:
	s_load_dword s2, s[4:5], 0x6ac
	s_load_dwordx8 s[8:15], s[4:5], 0x4e0
	s_add_u32 s0, s4, 0x6a0
	s_addc_u32 s1, s5, 0
	v_mov_b32_e32 v2, 0
	s_waitcnt lgkmcnt(0)
	s_and_b32 s2, s2, 0xffff
	s_mul_i32 s6, s6, s2
	v_add_u32_e32 v0, s6, v0
	v_mov_b32_e32 v1, v2
	v_cmp_gt_i64_e32 vcc, s[14:15], v[0:1]
	s_and_saveexec_b64 s[6:7], vcc
	s_cbranch_execz .LBB45_16
; %bb.1:
	s_load_dwordx2 s[6:7], s[4:5], 0x5d0
	s_load_dwordx2 s[16:17], s[4:5], 0x500
	s_load_dword s3, s[4:5], 0x4d8
	s_load_dwordx2 s[18:19], s[4:5], 0x0
	s_load_dwordx2 s[20:21], s[4:5], 0xd0
	s_load_dword s28, s[0:1], 0x0
	s_add_u32 s26, s4, 0x340
	s_addc_u32 s27, s5, 0
	s_mov_b32 s42, 0
	s_waitcnt lgkmcnt(0)
	s_cmp_gt_i32 s3, 1
	s_cselect_b64 s[0:1], -1, 0
	s_sub_u32 s33, s12, s10
	s_subb_u32 s40, s13, s11
	s_mul_i32 s41, s28, s2
	s_add_i32 s43, s3, 1
	s_add_i32 s2, s3, -1
	s_mov_b32 s3, s42
	s_load_dwordx2 s[22:23], s[4:5], 0x410
	s_load_dwordx2 s[24:25], s[4:5], 0x340
	s_lshl_b64 s[2:3], s[2:3], 3
	s_add_u32 s2, s2, s26
	s_addc_u32 s3, s3, s27
	s_add_u32 s4, s2, 8
	v_cndmask_b32_e64 v3, 0, 1, s[0:1]
	s_addc_u32 s5, s3, 0
	s_mov_b64 s[26:27], 0
	v_cmp_ne_u32_e64 s[0:1], 1, v3
	s_branch .LBB45_4
.LBB45_2:                               ;   in Loop: Header=BB45_4 Depth=1
	s_or_b64 exec, exec, s[2:3]
	v_mul_lo_u32 v3, v1, s6
	v_mul_lo_u32 v7, v0, s7
	v_mad_u64_u32 v[4:5], s[2:3], v0, s6, 0
	v_add3_u32 v5, v5, v7, v3
	v_lshlrev_b64 v[4:5], 3, v[4:5]
	v_mov_b32_e32 v3, s17
	v_add_co_u32_e32 v4, vcc, s16, v4
	v_addc_co_u32_e32 v5, vcc, v3, v5, vcc
	global_load_dwordx2 v[4:5], v[4:5], off
	v_ashrrev_i32_e32 v7, 31, v6
	v_cmp_eq_u64_e32 vcc, s[8:9], v[6:7]
	v_cndmask_b32_e64 v3, 0, 1, vcc
	v_sub_co_u32_e32 v3, vcc, v6, v3
	v_subbrev_co_u32_e32 v6, vcc, 0, v7, vcc
	v_mul_lo_u32 v8, v6, s20
	v_mul_lo_u32 v9, v3, s21
	v_mad_u64_u32 v[6:7], s[2:3], v3, s20, 0
	v_add3_u32 v7, v7, v9, v8
	v_lshlrev_b64 v[6:7], 3, v[6:7]
	v_mov_b32_e32 v3, s19
	v_add_co_u32_e32 v6, vcc, s18, v6
	v_addc_co_u32_e32 v7, vcc, v3, v7, vcc
	s_waitcnt vmcnt(0)
	global_atomic_add_f64 v[6:7], v[4:5], off
.LBB45_3:                               ;   in Loop: Header=BB45_4 Depth=1
	s_or_b64 exec, exec, s[28:29]
	v_mov_b32_e32 v3, s42
	v_add_co_u32_e32 v0, vcc, s41, v0
	v_addc_co_u32_e32 v1, vcc, v1, v3, vcc
	v_cmp_le_i64_e32 vcc, s[14:15], v[0:1]
	s_or_b64 s[26:27], vcc, s[26:27]
	s_andn2_b64 exec, exec, s[26:27]
	s_cbranch_execz .LBB45_16
.LBB45_4:                               ; =>This Loop Header: Depth=1
                                        ;     Child Loop BB45_5 Depth 2
	s_and_b64 vcc, exec, s[0:1]
	v_pk_mov_b32 v[4:5], 0, 0
	s_mov_b64 s[28:29], s[4:5]
	s_mov_b32 s44, s43
	v_pk_mov_b32 v[6:7], v[0:1], v[0:1] op_sel:[0,1]
	v_pk_mov_b32 v[8:9], v[0:1], v[0:1] op_sel:[0,1]
	s_cbranch_vccnz .LBB45_11
.LBB45_5:                               ;   Parent Loop BB45_4 Depth=1
                                        ; =>  This Inner Loop Header: Depth=2
	s_load_dwordx2 s[30:31], s[28:29], 0x0
                                        ; implicit-def: $vgpr8_vgpr9
	s_waitcnt lgkmcnt(0)
	v_or_b32_e32 v3, s31, v7
	v_cmp_ne_u64_e32 vcc, 0, v[2:3]
	s_and_saveexec_b64 s[2:3], vcc
	s_xor_b64 s[34:35], exec, s[2:3]
	s_cbranch_execz .LBB45_7
; %bb.6:                                ;   in Loop: Header=BB45_5 Depth=2
	s_ashr_i32 s36, s31, 31
	s_add_u32 s2, s30, s36
	s_mov_b32 s37, s36
	s_addc_u32 s3, s31, s36
	s_xor_b64 s[38:39], s[2:3], s[36:37]
	v_cvt_f32_u32_e32 v3, s38
	v_cvt_f32_u32_e32 v8, s39
	s_sub_u32 s2, 0, s38
	s_subb_u32 s3, 0, s39
	v_mac_f32_e32 v3, 0x4f800000, v8
	v_rcp_f32_e32 v3, v3
	v_mul_f32_e32 v3, 0x5f7ffffc, v3
	v_mul_f32_e32 v8, 0x2f800000, v3
	v_trunc_f32_e32 v8, v8
	v_mac_f32_e32 v3, 0xcf800000, v8
	v_cvt_u32_f32_e32 v8, v8
	v_cvt_u32_f32_e32 v3, v3
	v_mul_lo_u32 v9, s2, v8
	v_mul_hi_u32 v11, s2, v3
	v_mul_lo_u32 v10, s3, v3
	v_add_u32_e32 v9, v11, v9
	v_mul_lo_u32 v12, s2, v3
	v_add_u32_e32 v9, v9, v10
	v_mul_lo_u32 v11, v3, v9
	v_mul_hi_u32 v13, v3, v12
	v_mul_hi_u32 v10, v3, v9
	v_add_co_u32_e32 v11, vcc, v13, v11
	v_addc_co_u32_e32 v10, vcc, 0, v10, vcc
	v_mul_hi_u32 v14, v8, v12
	v_mul_lo_u32 v12, v8, v12
	v_add_co_u32_e32 v11, vcc, v11, v12
	v_mul_hi_u32 v13, v8, v9
	v_addc_co_u32_e32 v10, vcc, v10, v14, vcc
	v_addc_co_u32_e32 v11, vcc, 0, v13, vcc
	v_mul_lo_u32 v9, v8, v9
	v_add_co_u32_e32 v9, vcc, v10, v9
	v_addc_co_u32_e32 v10, vcc, 0, v11, vcc
	v_add_co_u32_e32 v3, vcc, v3, v9
	v_addc_co_u32_e32 v8, vcc, v8, v10, vcc
	v_mul_lo_u32 v9, s2, v8
	v_mul_hi_u32 v10, s2, v3
	v_add_u32_e32 v9, v10, v9
	v_mul_lo_u32 v10, s3, v3
	v_add_u32_e32 v9, v9, v10
	v_mul_lo_u32 v11, s2, v3
	v_mul_hi_u32 v12, v8, v11
	v_mul_lo_u32 v13, v8, v11
	v_mul_lo_u32 v15, v3, v9
	v_mul_hi_u32 v11, v3, v11
	v_mul_hi_u32 v14, v3, v9
	v_add_co_u32_e32 v11, vcc, v11, v15
	v_addc_co_u32_e32 v14, vcc, 0, v14, vcc
	v_add_co_u32_e32 v11, vcc, v11, v13
	v_mul_hi_u32 v10, v8, v9
	v_addc_co_u32_e32 v11, vcc, v14, v12, vcc
	v_addc_co_u32_e32 v10, vcc, 0, v10, vcc
	v_mul_lo_u32 v9, v8, v9
	v_add_co_u32_e32 v9, vcc, v11, v9
	v_addc_co_u32_e32 v10, vcc, 0, v10, vcc
	v_add_co_u32_e32 v3, vcc, v3, v9
	v_addc_co_u32_e32 v10, vcc, v8, v10, vcc
	v_ashrrev_i32_e32 v12, 31, v7
	v_add_co_u32_e32 v8, vcc, v6, v12
	v_addc_co_u32_e32 v9, vcc, v7, v12, vcc
	v_xor_b32_e32 v14, v8, v12
	v_xor_b32_e32 v13, v9, v12
	v_mad_u64_u32 v[8:9], s[2:3], v14, v10, 0
	v_mul_hi_u32 v11, v14, v3
	v_add_co_u32_e32 v15, vcc, v11, v8
	v_addc_co_u32_e32 v16, vcc, 0, v9, vcc
	v_mad_u64_u32 v[8:9], s[2:3], v13, v10, 0
	v_mad_u64_u32 v[10:11], s[2:3], v13, v3, 0
	v_add_co_u32_e32 v3, vcc, v15, v10
	v_addc_co_u32_e32 v3, vcc, v16, v11, vcc
	v_addc_co_u32_e32 v9, vcc, 0, v9, vcc
	v_add_co_u32_e32 v3, vcc, v3, v8
	v_addc_co_u32_e32 v10, vcc, 0, v9, vcc
	v_mul_lo_u32 v11, s39, v3
	v_mul_lo_u32 v15, s38, v10
	v_mad_u64_u32 v[8:9], s[2:3], s38, v3, 0
	v_add3_u32 v9, v9, v15, v11
	v_sub_u32_e32 v11, v13, v9
	v_mov_b32_e32 v15, s39
	v_sub_co_u32_e32 v8, vcc, v14, v8
	v_subb_co_u32_e64 v11, s[2:3], v11, v15, vcc
	v_subrev_co_u32_e64 v14, s[2:3], s38, v8
	v_subbrev_co_u32_e64 v11, s[2:3], 0, v11, s[2:3]
	v_cmp_le_u32_e64 s[2:3], s39, v11
	v_cndmask_b32_e64 v15, 0, -1, s[2:3]
	v_cmp_le_u32_e64 s[2:3], s38, v14
	v_cndmask_b32_e64 v14, 0, -1, s[2:3]
	v_cmp_eq_u32_e64 s[2:3], s39, v11
	v_cndmask_b32_e64 v11, v15, v14, s[2:3]
	v_add_co_u32_e64 v14, s[2:3], 2, v3
	v_subb_co_u32_e32 v9, vcc, v13, v9, vcc
	v_addc_co_u32_e64 v15, s[2:3], 0, v10, s[2:3]
	v_cmp_le_u32_e32 vcc, s39, v9
	v_add_co_u32_e64 v16, s[2:3], 1, v3
	v_cndmask_b32_e64 v13, 0, -1, vcc
	v_cmp_le_u32_e32 vcc, s38, v8
	v_addc_co_u32_e64 v17, s[2:3], 0, v10, s[2:3]
	v_cndmask_b32_e64 v8, 0, -1, vcc
	v_cmp_eq_u32_e32 vcc, s39, v9
	v_cmp_ne_u32_e64 s[2:3], 0, v11
	v_cndmask_b32_e32 v8, v13, v8, vcc
	v_cmp_ne_u32_e32 vcc, 0, v8
	v_cndmask_b32_e64 v9, v16, v14, s[2:3]
	v_cndmask_b32_e64 v11, v17, v15, s[2:3]
	v_cndmask_b32_e32 v3, v3, v9, vcc
	v_xor_b32_e32 v9, s36, v12
	v_cndmask_b32_e32 v8, v10, v11, vcc
	v_xor_b32_e32 v3, v3, v9
	v_xor_b32_e32 v10, v8, v9
	v_sub_co_u32_e32 v8, vcc, v3, v9
	v_subb_co_u32_e32 v9, vcc, v10, v9, vcc
.LBB45_7:                               ;   in Loop: Header=BB45_5 Depth=2
	s_andn2_saveexec_b64 s[2:3], s[34:35]
	s_cbranch_execz .LBB45_9
; %bb.8:                                ;   in Loop: Header=BB45_5 Depth=2
	v_cvt_f32_u32_e32 v3, s30
	s_sub_i32 s34, 0, s30
	v_rcp_iflag_f32_e32 v3, v3
	v_mul_f32_e32 v3, 0x4f7ffffe, v3
	v_cvt_u32_f32_e32 v3, v3
	v_mul_lo_u32 v8, s34, v3
	v_mul_hi_u32 v8, v3, v8
	v_add_u32_e32 v3, v3, v8
	v_mul_hi_u32 v3, v6, v3
	v_mul_lo_u32 v8, v3, s30
	v_sub_u32_e32 v8, v6, v8
	v_add_u32_e32 v9, 1, v3
	v_subrev_u32_e32 v10, s30, v8
	v_cmp_le_u32_e32 vcc, s30, v8
	v_cndmask_b32_e32 v8, v8, v10, vcc
	v_cndmask_b32_e32 v3, v3, v9, vcc
	v_add_u32_e32 v9, 1, v3
	v_cmp_le_u32_e32 vcc, s30, v8
	v_cndmask_b32_e32 v8, v3, v9, vcc
	v_mov_b32_e32 v9, v2
.LBB45_9:                               ;   in Loop: Header=BB45_5 Depth=2
	s_or_b64 exec, exec, s[2:3]
	v_mad_u64_u32 v[10:11], s[2:3], v8, s30, 0
	s_load_dwordx2 s[2:3], s[28:29], 0xc8
	v_mul_lo_u32 v3, v9, s30
	v_mul_lo_u32 v12, v8, s31
	v_add3_u32 v3, v11, v12, v3
	v_sub_co_u32_e32 v6, vcc, v6, v10
	s_add_i32 s44, s44, -1
	v_subb_co_u32_e32 v3, vcc, v7, v3, vcc
	s_add_u32 s28, s28, -8
	s_waitcnt lgkmcnt(0)
	v_mul_lo_u32 v3, s2, v3
	v_mul_lo_u32 v7, s3, v6
	v_mad_u64_u32 v[4:5], s[2:3], s2, v6, v[4:5]
	s_addc_u32 s29, s29, -1
	s_cmp_gt_u32 s44, 2
	v_add3_u32 v5, v7, v5, v3
	s_cbranch_scc0 .LBB45_11
; %bb.10:                               ;   in Loop: Header=BB45_5 Depth=2
	v_pk_mov_b32 v[6:7], v[8:9], v[8:9] op_sel:[0,1]
	s_branch .LBB45_5
.LBB45_11:                              ;   in Loop: Header=BB45_4 Depth=1
	s_waitcnt lgkmcnt(0)
	v_mul_lo_u32 v3, s23, v8
	v_mul_lo_u32 v9, s22, v9
	v_mad_u64_u32 v[6:7], s[2:3], s22, v8, 0
	v_add3_u32 v7, v7, v9, v3
	v_lshlrev_b64 v[6:7], 3, v[6:7]
	v_mov_b32_e32 v3, s25
	v_add_co_u32_e32 v6, vcc, s24, v6
	v_addc_co_u32_e32 v3, vcc, v3, v7, vcc
	v_lshlrev_b64 v[4:5], 3, v[4:5]
	v_add_co_u32_e32 v4, vcc, v6, v4
	v_addc_co_u32_e32 v5, vcc, v3, v5, vcc
	global_load_dwordx2 v[4:5], v[4:5], off
	s_waitcnt vmcnt(0)
	v_cmp_le_i64_e32 vcc, s[10:11], v[4:5]
	v_cmp_ge_i64_e64 s[2:3], s[12:13], v[4:5]
	s_and_b64 s[2:3], vcc, s[2:3]
	s_and_saveexec_b64 s[28:29], s[2:3]
	s_cbranch_execz .LBB45_3
; %bb.12:                               ;   in Loop: Header=BB45_4 Depth=1
	v_mov_b32_e32 v3, s11
	v_subrev_co_u32_e32 v4, vcc, s10, v4
	v_subb_co_u32_e32 v3, vcc, v5, v3, vcc
	v_mul_lo_u32 v3, v3, s8
	v_mul_lo_u32 v6, v4, s9
	v_mad_u64_u32 v[4:5], s[2:3], v4, s8, 0
	v_add3_u32 v5, v5, v6, v3
	v_or_b32_e32 v3, s40, v5
	v_cmp_ne_u64_e32 vcc, 0, v[2:3]
                                        ; implicit-def: $vgpr6_vgpr7
	s_and_saveexec_b64 s[2:3], vcc
	s_xor_b64 s[30:31], exec, s[2:3]
	s_cbranch_execz .LBB45_14
; %bb.13:                               ;   in Loop: Header=BB45_4 Depth=1
	s_ashr_i32 s34, s40, 31
	s_add_u32 s2, s33, s34
	s_mov_b32 s35, s34
	s_addc_u32 s3, s40, s34
	s_xor_b64 s[36:37], s[2:3], s[34:35]
	v_cvt_f32_u32_e32 v3, s36
	v_cvt_f32_u32_e32 v6, s37
	s_sub_u32 s2, 0, s36
	s_subb_u32 s3, 0, s37
	v_mac_f32_e32 v3, 0x4f800000, v6
	v_rcp_f32_e32 v3, v3
	v_mul_f32_e32 v3, 0x5f7ffffc, v3
	v_mul_f32_e32 v6, 0x2f800000, v3
	v_trunc_f32_e32 v6, v6
	v_mac_f32_e32 v3, 0xcf800000, v6
	v_cvt_u32_f32_e32 v6, v6
	v_cvt_u32_f32_e32 v3, v3
	v_mul_lo_u32 v7, s2, v6
	v_mul_hi_u32 v9, s2, v3
	v_mul_lo_u32 v8, s3, v3
	v_add_u32_e32 v7, v9, v7
	v_mul_lo_u32 v10, s2, v3
	v_add_u32_e32 v7, v7, v8
	v_mul_lo_u32 v9, v3, v7
	v_mul_hi_u32 v11, v3, v10
	v_mul_hi_u32 v8, v3, v7
	v_add_co_u32_e32 v9, vcc, v11, v9
	v_addc_co_u32_e32 v8, vcc, 0, v8, vcc
	v_mul_hi_u32 v12, v6, v10
	v_mul_lo_u32 v10, v6, v10
	v_add_co_u32_e32 v9, vcc, v9, v10
	v_mul_hi_u32 v11, v6, v7
	v_addc_co_u32_e32 v8, vcc, v8, v12, vcc
	v_addc_co_u32_e32 v9, vcc, 0, v11, vcc
	v_mul_lo_u32 v7, v6, v7
	v_add_co_u32_e32 v7, vcc, v8, v7
	v_addc_co_u32_e32 v8, vcc, 0, v9, vcc
	v_add_co_u32_e32 v3, vcc, v3, v7
	v_addc_co_u32_e32 v6, vcc, v6, v8, vcc
	v_mul_lo_u32 v7, s2, v6
	v_mul_hi_u32 v8, s2, v3
	v_add_u32_e32 v7, v8, v7
	v_mul_lo_u32 v8, s3, v3
	v_add_u32_e32 v7, v7, v8
	v_mul_lo_u32 v9, s2, v3
	v_mul_hi_u32 v10, v6, v9
	v_mul_lo_u32 v11, v6, v9
	v_mul_lo_u32 v13, v3, v7
	v_mul_hi_u32 v9, v3, v9
	v_mul_hi_u32 v12, v3, v7
	v_add_co_u32_e32 v9, vcc, v9, v13
	v_addc_co_u32_e32 v12, vcc, 0, v12, vcc
	v_add_co_u32_e32 v9, vcc, v9, v11
	v_mul_hi_u32 v8, v6, v7
	v_addc_co_u32_e32 v9, vcc, v12, v10, vcc
	v_addc_co_u32_e32 v8, vcc, 0, v8, vcc
	v_mul_lo_u32 v7, v6, v7
	v_add_co_u32_e32 v7, vcc, v9, v7
	v_addc_co_u32_e32 v8, vcc, 0, v8, vcc
	v_add_co_u32_e32 v3, vcc, v3, v7
	v_addc_co_u32_e32 v6, vcc, v6, v8, vcc
	v_ashrrev_i32_e32 v8, 31, v5
	v_add_co_u32_e32 v4, vcc, v4, v8
	v_addc_co_u32_e32 v5, vcc, v5, v8, vcc
	v_xor_b32_e32 v10, v4, v8
	v_xor_b32_e32 v9, v5, v8
	v_mad_u64_u32 v[4:5], s[2:3], v10, v6, 0
	v_mul_hi_u32 v7, v10, v3
	v_add_co_u32_e32 v11, vcc, v7, v4
	v_addc_co_u32_e32 v12, vcc, 0, v5, vcc
	v_mad_u64_u32 v[4:5], s[2:3], v9, v6, 0
	v_mad_u64_u32 v[6:7], s[2:3], v9, v3, 0
	v_add_co_u32_e32 v3, vcc, v11, v6
	v_addc_co_u32_e32 v3, vcc, v12, v7, vcc
	v_addc_co_u32_e32 v5, vcc, 0, v5, vcc
	v_add_co_u32_e32 v3, vcc, v3, v4
	v_addc_co_u32_e32 v4, vcc, 0, v5, vcc
	v_mul_lo_u32 v6, s37, v3
	v_mul_lo_u32 v7, s36, v4
	v_mad_u64_u32 v[4:5], s[2:3], s36, v3, 0
	v_add3_u32 v5, v5, v7, v6
	v_sub_u32_e32 v6, v9, v5
	v_mov_b32_e32 v7, s37
	v_sub_co_u32_e32 v4, vcc, v10, v4
	v_subb_co_u32_e64 v6, s[2:3], v6, v7, vcc
	v_subrev_co_u32_e64 v7, s[2:3], s36, v4
	v_subbrev_co_u32_e64 v6, s[2:3], 0, v6, s[2:3]
	v_cmp_le_u32_e64 s[2:3], s37, v6
	v_subb_co_u32_e32 v5, vcc, v9, v5, vcc
	v_cndmask_b32_e64 v10, 0, -1, s[2:3]
	v_cmp_le_u32_e64 s[2:3], s36, v7
	v_cmp_le_u32_e32 vcc, s37, v5
	v_cndmask_b32_e64 v7, 0, -1, s[2:3]
	v_cmp_eq_u32_e64 s[2:3], s37, v6
	v_cndmask_b32_e64 v9, 0, -1, vcc
	v_cmp_le_u32_e32 vcc, s36, v4
	v_cndmask_b32_e64 v6, v10, v7, s[2:3]
	v_cndmask_b32_e64 v4, 0, -1, vcc
	v_cmp_eq_u32_e32 vcc, s37, v5
	v_add_co_u32_e64 v7, s[2:3], 2, v3
	v_add_co_u32_e64 v10, s[2:3], 1, v3
	v_cndmask_b32_e32 v4, v9, v4, vcc
	v_cmp_ne_u32_e32 vcc, 0, v6
	v_cndmask_b32_e32 v5, v10, v7, vcc
	v_cmp_ne_u32_e32 vcc, 0, v4
	v_cndmask_b32_e32 v3, v3, v5, vcc
	v_xor_b32_e32 v4, s34, v8
	v_xor_b32_e32 v3, v3, v4
	v_sub_co_u32_e32 v6, vcc, v3, v4
                                        ; implicit-def: $vgpr4_vgpr5
.LBB45_14:                              ;   in Loop: Header=BB45_4 Depth=1
	s_andn2_saveexec_b64 s[2:3], s[30:31]
	s_cbranch_execz .LBB45_2
; %bb.15:                               ;   in Loop: Header=BB45_4 Depth=1
	v_cvt_f32_u32_e32 v3, s33
	s_sub_i32 s30, 0, s33
	v_rcp_iflag_f32_e32 v3, v3
	v_mul_f32_e32 v3, 0x4f7ffffe, v3
	v_cvt_u32_f32_e32 v3, v3
	v_mul_lo_u32 v5, s30, v3
	v_mul_hi_u32 v5, v3, v5
	v_add_u32_e32 v3, v3, v5
	v_mul_hi_u32 v3, v4, v3
	v_mul_lo_u32 v5, v3, s33
	v_sub_u32_e32 v4, v4, v5
	v_add_u32_e32 v6, 1, v3
	v_subrev_u32_e32 v5, s33, v4
	v_cmp_le_u32_e32 vcc, s33, v4
	v_cndmask_b32_e32 v4, v4, v5, vcc
	v_cndmask_b32_e32 v3, v3, v6, vcc
	v_add_u32_e32 v5, 1, v3
	v_cmp_le_u32_e32 vcc, s33, v4
	v_cndmask_b32_e32 v6, v3, v5, vcc
	s_branch .LBB45_2
.LBB45_16:
	s_endpgm
	.section	.rodata,"a",@progbits
	.p2align	6, 0x0
	.amdhsa_kernel _ZN2at4cuda17kernelHistogram1DIdllLi1ELi2ELin1ELNS0_23CUDAHistogramMemoryTypeE1EZNS0_21CUDA_tensor_histogramIdlLb1EEEbNS_6TensorES4_S4_lNS_14AccumulateTypeIT0_Lb1EE4typeES8_NS0_13TensorArgTypeES9_S9_EUllE_EEvNS0_6detail10TensorInfoIT_T1_EESF_NSC_IKS6_SE_EElS8_S8_SE_T6_
		.amdhsa_group_segment_fixed_size 0
		.amdhsa_private_segment_fixed_size 0
		.amdhsa_kernarg_size 1952
		.amdhsa_user_sgpr_count 6
		.amdhsa_user_sgpr_private_segment_buffer 1
		.amdhsa_user_sgpr_dispatch_ptr 0
		.amdhsa_user_sgpr_queue_ptr 0
		.amdhsa_user_sgpr_kernarg_segment_ptr 1
		.amdhsa_user_sgpr_dispatch_id 0
		.amdhsa_user_sgpr_flat_scratch_init 0
		.amdhsa_user_sgpr_kernarg_preload_length 0
		.amdhsa_user_sgpr_kernarg_preload_offset 0
		.amdhsa_user_sgpr_private_segment_size 0
		.amdhsa_uses_dynamic_stack 0
		.amdhsa_system_sgpr_private_segment_wavefront_offset 0
		.amdhsa_system_sgpr_workgroup_id_x 1
		.amdhsa_system_sgpr_workgroup_id_y 0
		.amdhsa_system_sgpr_workgroup_id_z 0
		.amdhsa_system_sgpr_workgroup_info 0
		.amdhsa_system_vgpr_workitem_id 0
		.amdhsa_next_free_vgpr 18
		.amdhsa_next_free_sgpr 45
		.amdhsa_accum_offset 20
		.amdhsa_reserve_vcc 1
		.amdhsa_reserve_flat_scratch 0
		.amdhsa_float_round_mode_32 0
		.amdhsa_float_round_mode_16_64 0
		.amdhsa_float_denorm_mode_32 3
		.amdhsa_float_denorm_mode_16_64 3
		.amdhsa_dx10_clamp 1
		.amdhsa_ieee_mode 1
		.amdhsa_fp16_overflow 0
		.amdhsa_tg_split 0
		.amdhsa_exception_fp_ieee_invalid_op 0
		.amdhsa_exception_fp_denorm_src 0
		.amdhsa_exception_fp_ieee_div_zero 0
		.amdhsa_exception_fp_ieee_overflow 0
		.amdhsa_exception_fp_ieee_underflow 0
		.amdhsa_exception_fp_ieee_inexact 0
		.amdhsa_exception_int_div_zero 0
	.end_amdhsa_kernel
	.section	.text._ZN2at4cuda17kernelHistogram1DIdllLi1ELi2ELin1ELNS0_23CUDAHistogramMemoryTypeE1EZNS0_21CUDA_tensor_histogramIdlLb1EEEbNS_6TensorES4_S4_lNS_14AccumulateTypeIT0_Lb1EE4typeES8_NS0_13TensorArgTypeES9_S9_EUllE_EEvNS0_6detail10TensorInfoIT_T1_EESF_NSC_IKS6_SE_EElS8_S8_SE_T6_,"axG",@progbits,_ZN2at4cuda17kernelHistogram1DIdllLi1ELi2ELin1ELNS0_23CUDAHistogramMemoryTypeE1EZNS0_21CUDA_tensor_histogramIdlLb1EEEbNS_6TensorES4_S4_lNS_14AccumulateTypeIT0_Lb1EE4typeES8_NS0_13TensorArgTypeES9_S9_EUllE_EEvNS0_6detail10TensorInfoIT_T1_EESF_NSC_IKS6_SE_EElS8_S8_SE_T6_,comdat
.Lfunc_end45:
	.size	_ZN2at4cuda17kernelHistogram1DIdllLi1ELi2ELin1ELNS0_23CUDAHistogramMemoryTypeE1EZNS0_21CUDA_tensor_histogramIdlLb1EEEbNS_6TensorES4_S4_lNS_14AccumulateTypeIT0_Lb1EE4typeES8_NS0_13TensorArgTypeES9_S9_EUllE_EEvNS0_6detail10TensorInfoIT_T1_EESF_NSC_IKS6_SE_EElS8_S8_SE_T6_, .Lfunc_end45-_ZN2at4cuda17kernelHistogram1DIdllLi1ELi2ELin1ELNS0_23CUDAHistogramMemoryTypeE1EZNS0_21CUDA_tensor_histogramIdlLb1EEEbNS_6TensorES4_S4_lNS_14AccumulateTypeIT0_Lb1EE4typeES8_NS0_13TensorArgTypeES9_S9_EUllE_EEvNS0_6detail10TensorInfoIT_T1_EESF_NSC_IKS6_SE_EElS8_S8_SE_T6_
                                        ; -- End function
	.section	.AMDGPU.csdata,"",@progbits
; Kernel info:
; codeLenInByte = 2288
; NumSgprs: 49
; NumVgprs: 18
; NumAgprs: 0
; TotalNumVgprs: 18
; ScratchSize: 0
; MemoryBound: 0
; FloatMode: 240
; IeeeMode: 1
; LDSByteSize: 0 bytes/workgroup (compile time only)
; SGPRBlocks: 6
; VGPRBlocks: 2
; NumSGPRsForWavesPerEU: 49
; NumVGPRsForWavesPerEU: 18
; AccumOffset: 20
; Occupancy: 8
; WaveLimiterHint : 1
; COMPUTE_PGM_RSRC2:SCRATCH_EN: 0
; COMPUTE_PGM_RSRC2:USER_SGPR: 6
; COMPUTE_PGM_RSRC2:TRAP_HANDLER: 0
; COMPUTE_PGM_RSRC2:TGID_X_EN: 1
; COMPUTE_PGM_RSRC2:TGID_Y_EN: 0
; COMPUTE_PGM_RSRC2:TGID_Z_EN: 0
; COMPUTE_PGM_RSRC2:TIDIG_COMP_CNT: 0
; COMPUTE_PGM_RSRC3_GFX90A:ACCUM_OFFSET: 4
; COMPUTE_PGM_RSRC3_GFX90A:TG_SPLIT: 0
	.section	.text._ZN2at4cuda17kernelHistogram1DIdllLi1ELi2ELin1ELNS0_23CUDAHistogramMemoryTypeE0EZNS0_21CUDA_tensor_histogramIdlLb1EEEbNS_6TensorES4_S4_lNS_14AccumulateTypeIT0_Lb1EE4typeES8_NS0_13TensorArgTypeES9_S9_EUllE0_EEvNS0_6detail10TensorInfoIT_T1_EESF_NSC_IKS6_SE_EElS8_S8_SE_T6_,"axG",@progbits,_ZN2at4cuda17kernelHistogram1DIdllLi1ELi2ELin1ELNS0_23CUDAHistogramMemoryTypeE0EZNS0_21CUDA_tensor_histogramIdlLb1EEEbNS_6TensorES4_S4_lNS_14AccumulateTypeIT0_Lb1EE4typeES8_NS0_13TensorArgTypeES9_S9_EUllE0_EEvNS0_6detail10TensorInfoIT_T1_EESF_NSC_IKS6_SE_EElS8_S8_SE_T6_,comdat
	.protected	_ZN2at4cuda17kernelHistogram1DIdllLi1ELi2ELin1ELNS0_23CUDAHistogramMemoryTypeE0EZNS0_21CUDA_tensor_histogramIdlLb1EEEbNS_6TensorES4_S4_lNS_14AccumulateTypeIT0_Lb1EE4typeES8_NS0_13TensorArgTypeES9_S9_EUllE0_EEvNS0_6detail10TensorInfoIT_T1_EESF_NSC_IKS6_SE_EElS8_S8_SE_T6_ ; -- Begin function _ZN2at4cuda17kernelHistogram1DIdllLi1ELi2ELin1ELNS0_23CUDAHistogramMemoryTypeE0EZNS0_21CUDA_tensor_histogramIdlLb1EEEbNS_6TensorES4_S4_lNS_14AccumulateTypeIT0_Lb1EE4typeES8_NS0_13TensorArgTypeES9_S9_EUllE0_EEvNS0_6detail10TensorInfoIT_T1_EESF_NSC_IKS6_SE_EElS8_S8_SE_T6_
	.globl	_ZN2at4cuda17kernelHistogram1DIdllLi1ELi2ELin1ELNS0_23CUDAHistogramMemoryTypeE0EZNS0_21CUDA_tensor_histogramIdlLb1EEEbNS_6TensorES4_S4_lNS_14AccumulateTypeIT0_Lb1EE4typeES8_NS0_13TensorArgTypeES9_S9_EUllE0_EEvNS0_6detail10TensorInfoIT_T1_EESF_NSC_IKS6_SE_EElS8_S8_SE_T6_
	.p2align	8
	.type	_ZN2at4cuda17kernelHistogram1DIdllLi1ELi2ELin1ELNS0_23CUDAHistogramMemoryTypeE0EZNS0_21CUDA_tensor_histogramIdlLb1EEEbNS_6TensorES4_S4_lNS_14AccumulateTypeIT0_Lb1EE4typeES8_NS0_13TensorArgTypeES9_S9_EUllE0_EEvNS0_6detail10TensorInfoIT_T1_EESF_NSC_IKS6_SE_EElS8_S8_SE_T6_,@function
_ZN2at4cuda17kernelHistogram1DIdllLi1ELi2ELin1ELNS0_23CUDAHistogramMemoryTypeE0EZNS0_21CUDA_tensor_histogramIdlLb1EEEbNS_6TensorES4_S4_lNS_14AccumulateTypeIT0_Lb1EE4typeES8_NS0_13TensorArgTypeES9_S9_EUllE0_EEvNS0_6detail10TensorInfoIT_T1_EESF_NSC_IKS6_SE_EElS8_S8_SE_T6_: ; @_ZN2at4cuda17kernelHistogram1DIdllLi1ELi2ELin1ELNS0_23CUDAHistogramMemoryTypeE0EZNS0_21CUDA_tensor_histogramIdlLb1EEEbNS_6TensorES4_S4_lNS_14AccumulateTypeIT0_Lb1EE4typeES8_NS0_13TensorArgTypeES9_S9_EUllE0_EEvNS0_6detail10TensorInfoIT_T1_EESF_NSC_IKS6_SE_EElS8_S8_SE_T6_
; %bb.0:
	s_load_dwordx4 s[16:19], s[4:5], 0x0
	v_mov_b32_e32 v1, 0
	s_add_u32 s2, s4, 0x508
	s_addc_u32 s3, s5, 0
                                        ; implicit-def: $sgpr7
                                        ; implicit-def: $sgpr10
	s_waitcnt lgkmcnt(0)
	v_cmp_gt_i64_e64 s[0:1], s[18:19], v[0:1]
	v_cmp_le_i64_e32 vcc, s[18:19], v[0:1]
	s_and_saveexec_b64 s[8:9], vcc
	s_xor_b64 s[8:9], exec, s[8:9]
	s_cbranch_execz .LBB46_2
; %bb.1:
	s_load_dword s7, s[2:3], 0xc
	s_waitcnt lgkmcnt(0)
	s_and_b32 s10, s7, 0xffff
.LBB46_2:
	s_or_saveexec_b64 s[8:9], s[8:9]
	s_load_dwordx2 s[20:21], s[4:5], 0xd0
	v_mov_b32_e32 v7, s7
	v_mov_b32_e32 v15, s10
	v_lshl_add_u32 v14, v0, 3, 0
	s_xor_b64 exec, exec, s[8:9]
	s_cbranch_execz .LBB46_6
; %bb.3:
	s_load_dword s7, s[2:3], 0xc
	s_mov_b32 s14, 0
	v_mov_b32_e32 v2, 0
	v_lshl_add_u32 v6, v0, 3, 0
	s_mov_b64 s[10:11], 0
	s_waitcnt lgkmcnt(0)
	s_and_b32 s12, s7, 0xffff
	s_lshl_b32 s13, s12, 3
	v_mov_b32_e32 v3, v2
	v_mov_b32_e32 v7, s14
	v_pk_mov_b32 v[4:5], v[0:1], v[0:1] op_sel:[0,1]
.LBB46_4:                               ; =>This Inner Loop Header: Depth=1
	v_add_co_u32_e32 v4, vcc, s12, v4
	v_addc_co_u32_e32 v5, vcc, v5, v7, vcc
	v_cmp_le_i64_e32 vcc, s[18:19], v[4:5]
	ds_write_b64 v6, v[2:3]
	s_or_b64 s[10:11], vcc, s[10:11]
	v_add_u32_e32 v6, s13, v6
	s_andn2_b64 exec, exec, s[10:11]
	s_cbranch_execnz .LBB46_4
; %bb.5:
	s_or_b64 exec, exec, s[10:11]
	v_mov_b32_e32 v7, s7
	v_mov_b32_e32 v15, s12
.LBB46_6:
	s_or_b64 exec, exec, s[8:9]
	s_load_dwordx8 s[8:15], s[4:5], 0x4e0
	v_mad_u64_u32 v[2:3], s[6:7], s6, v15, v[0:1]
	v_mov_b32_e32 v4, 0
	v_mov_b32_e32 v3, v4
	s_waitcnt lgkmcnt(0)
	v_cmp_gt_i64_e32 vcc, s[14:15], v[2:3]
	s_barrier
	s_and_saveexec_b64 s[6:7], vcc
	s_cbranch_execz .LBB46_22
; %bb.7:
	s_load_dword s26, s[4:5], 0x4d8
	s_load_dwordx2 s[22:23], s[4:5], 0x410
	s_load_dwordx2 s[24:25], s[4:5], 0x340
	s_add_u32 s27, s4, 0x340
	s_addc_u32 s29, s5, 0
	s_waitcnt lgkmcnt(0)
	s_cmp_gt_i32 s26, 1
	s_load_dword s28, s[2:3], 0x0
	s_cselect_b64 s[2:3], -1, 0
	s_sub_u32 s33, s12, s10
	s_subb_u32 s44, s13, s11
	s_mov_b32 s5, 0
	s_add_i32 s4, s26, -1
	s_add_i32 s45, s26, 1
	s_lshl_b64 s[4:5], s[4:5], 3
	s_add_u32 s4, s4, s27
	s_addc_u32 s5, s5, s29
	s_add_u32 s26, s4, 8
	v_cndmask_b32_e64 v5, 0, 1, s[2:3]
	s_waitcnt lgkmcnt(0)
	v_mul_lo_u32 v6, s28, v15
	s_addc_u32 s27, s5, 0
	s_mov_b64 s[28:29], 0
	v_cmp_ne_u32_e64 s[2:3], 1, v5
	s_mov_b64 s[30:31], src_shared_base
	s_branch .LBB46_10
.LBB46_8:                               ;   in Loop: Header=BB46_10 Depth=1
	s_or_b64 exec, exec, s[4:5]
	v_ashrrev_i32_e32 v11, 31, v10
	v_cmp_eq_u64_e32 vcc, s[8:9], v[10:11]
	v_subbrev_co_u32_e32 v5, vcc, 0, v10, vcc
	v_mov_b32_e32 v10, 0
	v_lshl_add_u32 v8, v5, 3, 0
	v_mov_b32_e32 v9, s31
	v_mov_b32_e32 v11, 0x3ff00000
	flat_atomic_add_f64 v[8:9], v[10:11]
.LBB46_9:                               ;   in Loop: Header=BB46_10 Depth=1
	s_or_b64 exec, exec, s[34:35]
	v_add_co_u32_e32 v2, vcc, v2, v6
	v_addc_co_u32_e32 v3, vcc, 0, v3, vcc
	v_cmp_le_i64_e32 vcc, s[14:15], v[2:3]
	s_or_b64 s[28:29], vcc, s[28:29]
	s_andn2_b64 exec, exec, s[28:29]
	s_cbranch_execz .LBB46_22
.LBB46_10:                              ; =>This Loop Header: Depth=1
                                        ;     Child Loop BB46_11 Depth 2
	s_and_b64 vcc, exec, s[2:3]
	v_pk_mov_b32 v[8:9], 0, 0
	s_mov_b64 s[34:35], s[26:27]
	s_mov_b32 s30, s45
	v_pk_mov_b32 v[10:11], v[2:3], v[2:3] op_sel:[0,1]
	v_pk_mov_b32 v[12:13], v[2:3], v[2:3] op_sel:[0,1]
	s_cbranch_vccnz .LBB46_17
.LBB46_11:                              ;   Parent Loop BB46_10 Depth=1
                                        ; =>  This Inner Loop Header: Depth=2
	s_load_dwordx2 s[36:37], s[34:35], 0x0
                                        ; implicit-def: $vgpr12_vgpr13
	s_waitcnt lgkmcnt(0)
	v_or_b32_e32 v5, s37, v11
	v_cmp_ne_u64_e32 vcc, 0, v[4:5]
	s_and_saveexec_b64 s[4:5], vcc
	s_xor_b64 s[38:39], exec, s[4:5]
	s_cbranch_execz .LBB46_13
; %bb.12:                               ;   in Loop: Header=BB46_11 Depth=2
	s_ashr_i32 s40, s37, 31
	s_add_u32 s4, s36, s40
	s_mov_b32 s41, s40
	s_addc_u32 s5, s37, s40
	s_xor_b64 s[42:43], s[4:5], s[40:41]
	v_cvt_f32_u32_e32 v5, s42
	v_cvt_f32_u32_e32 v12, s43
	s_sub_u32 s4, 0, s42
	s_subb_u32 s5, 0, s43
	v_mac_f32_e32 v5, 0x4f800000, v12
	v_rcp_f32_e32 v5, v5
	v_mul_f32_e32 v5, 0x5f7ffffc, v5
	v_mul_f32_e32 v12, 0x2f800000, v5
	v_trunc_f32_e32 v12, v12
	v_mac_f32_e32 v5, 0xcf800000, v12
	v_cvt_u32_f32_e32 v12, v12
	v_cvt_u32_f32_e32 v5, v5
	v_mul_lo_u32 v13, s4, v12
	v_mul_hi_u32 v17, s4, v5
	v_mul_lo_u32 v16, s5, v5
	v_add_u32_e32 v13, v17, v13
	v_mul_lo_u32 v18, s4, v5
	v_add_u32_e32 v13, v13, v16
	v_mul_lo_u32 v17, v5, v13
	v_mul_hi_u32 v19, v5, v18
	v_mul_hi_u32 v16, v5, v13
	v_add_co_u32_e32 v17, vcc, v19, v17
	v_addc_co_u32_e32 v16, vcc, 0, v16, vcc
	v_mul_hi_u32 v20, v12, v18
	v_mul_lo_u32 v18, v12, v18
	v_add_co_u32_e32 v17, vcc, v17, v18
	v_mul_hi_u32 v19, v12, v13
	v_addc_co_u32_e32 v16, vcc, v16, v20, vcc
	v_addc_co_u32_e32 v17, vcc, 0, v19, vcc
	v_mul_lo_u32 v13, v12, v13
	v_add_co_u32_e32 v13, vcc, v16, v13
	v_addc_co_u32_e32 v16, vcc, 0, v17, vcc
	v_add_co_u32_e32 v5, vcc, v5, v13
	v_addc_co_u32_e32 v12, vcc, v12, v16, vcc
	v_mul_lo_u32 v13, s4, v12
	v_mul_hi_u32 v16, s4, v5
	v_add_u32_e32 v13, v16, v13
	v_mul_lo_u32 v16, s5, v5
	v_add_u32_e32 v13, v13, v16
	v_mul_lo_u32 v17, s4, v5
	v_mul_hi_u32 v18, v12, v17
	v_mul_lo_u32 v19, v12, v17
	v_mul_lo_u32 v21, v5, v13
	v_mul_hi_u32 v17, v5, v17
	v_mul_hi_u32 v20, v5, v13
	v_add_co_u32_e32 v17, vcc, v17, v21
	v_addc_co_u32_e32 v20, vcc, 0, v20, vcc
	v_add_co_u32_e32 v17, vcc, v17, v19
	v_mul_hi_u32 v16, v12, v13
	v_addc_co_u32_e32 v17, vcc, v20, v18, vcc
	v_addc_co_u32_e32 v16, vcc, 0, v16, vcc
	v_mul_lo_u32 v13, v12, v13
	v_add_co_u32_e32 v13, vcc, v17, v13
	v_addc_co_u32_e32 v16, vcc, 0, v16, vcc
	v_add_co_u32_e32 v5, vcc, v5, v13
	v_addc_co_u32_e32 v16, vcc, v12, v16, vcc
	v_ashrrev_i32_e32 v18, 31, v11
	v_add_co_u32_e32 v12, vcc, v10, v18
	v_addc_co_u32_e32 v13, vcc, v11, v18, vcc
	v_xor_b32_e32 v20, v12, v18
	v_xor_b32_e32 v19, v13, v18
	v_mad_u64_u32 v[12:13], s[4:5], v20, v16, 0
	v_mul_hi_u32 v17, v20, v5
	v_add_co_u32_e32 v21, vcc, v17, v12
	v_addc_co_u32_e32 v22, vcc, 0, v13, vcc
	v_mad_u64_u32 v[12:13], s[4:5], v19, v16, 0
	v_mad_u64_u32 v[16:17], s[4:5], v19, v5, 0
	v_add_co_u32_e32 v5, vcc, v21, v16
	v_addc_co_u32_e32 v5, vcc, v22, v17, vcc
	v_addc_co_u32_e32 v13, vcc, 0, v13, vcc
	v_add_co_u32_e32 v5, vcc, v5, v12
	v_addc_co_u32_e32 v16, vcc, 0, v13, vcc
	v_mul_lo_u32 v17, s43, v5
	v_mul_lo_u32 v21, s42, v16
	v_mad_u64_u32 v[12:13], s[4:5], s42, v5, 0
	v_add3_u32 v13, v13, v21, v17
	v_sub_u32_e32 v17, v19, v13
	v_mov_b32_e32 v21, s43
	v_sub_co_u32_e32 v12, vcc, v20, v12
	v_subb_co_u32_e64 v17, s[4:5], v17, v21, vcc
	v_subrev_co_u32_e64 v20, s[4:5], s42, v12
	v_subbrev_co_u32_e64 v17, s[4:5], 0, v17, s[4:5]
	v_cmp_le_u32_e64 s[4:5], s43, v17
	v_cndmask_b32_e64 v21, 0, -1, s[4:5]
	v_cmp_le_u32_e64 s[4:5], s42, v20
	v_cndmask_b32_e64 v20, 0, -1, s[4:5]
	v_cmp_eq_u32_e64 s[4:5], s43, v17
	v_cndmask_b32_e64 v17, v21, v20, s[4:5]
	v_add_co_u32_e64 v20, s[4:5], 2, v5
	v_subb_co_u32_e32 v13, vcc, v19, v13, vcc
	v_addc_co_u32_e64 v21, s[4:5], 0, v16, s[4:5]
	v_cmp_le_u32_e32 vcc, s43, v13
	v_add_co_u32_e64 v22, s[4:5], 1, v5
	v_cndmask_b32_e64 v19, 0, -1, vcc
	v_cmp_le_u32_e32 vcc, s42, v12
	v_addc_co_u32_e64 v23, s[4:5], 0, v16, s[4:5]
	v_cndmask_b32_e64 v12, 0, -1, vcc
	v_cmp_eq_u32_e32 vcc, s43, v13
	v_cmp_ne_u32_e64 s[4:5], 0, v17
	v_cndmask_b32_e32 v12, v19, v12, vcc
	v_cmp_ne_u32_e32 vcc, 0, v12
	v_cndmask_b32_e64 v13, v22, v20, s[4:5]
	v_cndmask_b32_e64 v17, v23, v21, s[4:5]
	v_cndmask_b32_e32 v5, v5, v13, vcc
	v_xor_b32_e32 v13, s40, v18
	v_cndmask_b32_e32 v12, v16, v17, vcc
	v_xor_b32_e32 v5, v5, v13
	v_xor_b32_e32 v16, v12, v13
	v_sub_co_u32_e32 v12, vcc, v5, v13
	v_subb_co_u32_e32 v13, vcc, v16, v13, vcc
.LBB46_13:                              ;   in Loop: Header=BB46_11 Depth=2
	s_andn2_saveexec_b64 s[4:5], s[38:39]
	s_cbranch_execz .LBB46_15
; %bb.14:                               ;   in Loop: Header=BB46_11 Depth=2
	v_cvt_f32_u32_e32 v5, s36
	s_sub_i32 s38, 0, s36
	v_rcp_iflag_f32_e32 v5, v5
	v_mul_f32_e32 v5, 0x4f7ffffe, v5
	v_cvt_u32_f32_e32 v5, v5
	v_mul_lo_u32 v12, s38, v5
	v_mul_hi_u32 v12, v5, v12
	v_add_u32_e32 v5, v5, v12
	v_mul_hi_u32 v5, v10, v5
	v_mul_lo_u32 v12, v5, s36
	v_sub_u32_e32 v12, v10, v12
	v_add_u32_e32 v13, 1, v5
	v_subrev_u32_e32 v16, s36, v12
	v_cmp_le_u32_e32 vcc, s36, v12
	v_cndmask_b32_e32 v12, v12, v16, vcc
	v_cndmask_b32_e32 v5, v5, v13, vcc
	v_add_u32_e32 v13, 1, v5
	v_cmp_le_u32_e32 vcc, s36, v12
	v_cndmask_b32_e32 v12, v5, v13, vcc
	v_mov_b32_e32 v13, v4
.LBB46_15:                              ;   in Loop: Header=BB46_11 Depth=2
	s_or_b64 exec, exec, s[4:5]
	v_mad_u64_u32 v[16:17], s[4:5], v12, s36, 0
	s_load_dwordx2 s[4:5], s[34:35], 0xc8
	v_mul_lo_u32 v5, v13, s36
	v_mul_lo_u32 v18, v12, s37
	v_add3_u32 v5, v17, v18, v5
	v_sub_co_u32_e32 v10, vcc, v10, v16
	s_add_i32 s30, s30, -1
	v_subb_co_u32_e32 v5, vcc, v11, v5, vcc
	s_add_u32 s34, s34, -8
	s_waitcnt lgkmcnt(0)
	v_mul_lo_u32 v5, s4, v5
	v_mul_lo_u32 v11, s5, v10
	v_mad_u64_u32 v[8:9], s[4:5], s4, v10, v[8:9]
	s_addc_u32 s35, s35, -1
	s_cmp_gt_u32 s30, 2
	v_add3_u32 v9, v11, v9, v5
	s_cbranch_scc0 .LBB46_17
; %bb.16:                               ;   in Loop: Header=BB46_11 Depth=2
	v_pk_mov_b32 v[10:11], v[12:13], v[12:13] op_sel:[0,1]
	s_branch .LBB46_11
.LBB46_17:                              ;   in Loop: Header=BB46_10 Depth=1
	v_mul_lo_u32 v5, s23, v12
	v_mul_lo_u32 v13, s22, v13
	v_mad_u64_u32 v[10:11], s[4:5], s22, v12, 0
	v_add3_u32 v11, v11, v13, v5
	v_lshlrev_b64 v[10:11], 3, v[10:11]
	v_mov_b32_e32 v5, s25
	v_add_co_u32_e32 v10, vcc, s24, v10
	v_addc_co_u32_e32 v5, vcc, v5, v11, vcc
	v_lshlrev_b64 v[8:9], 3, v[8:9]
	v_add_co_u32_e32 v8, vcc, v10, v8
	v_addc_co_u32_e32 v9, vcc, v5, v9, vcc
	global_load_dwordx2 v[8:9], v[8:9], off
	s_waitcnt vmcnt(0)
	v_cmp_le_i64_e32 vcc, s[10:11], v[8:9]
	v_cmp_ge_i64_e64 s[4:5], s[12:13], v[8:9]
	s_and_b64 s[4:5], vcc, s[4:5]
	s_and_saveexec_b64 s[34:35], s[4:5]
	s_cbranch_execz .LBB46_9
; %bb.18:                               ;   in Loop: Header=BB46_10 Depth=1
	v_mov_b32_e32 v5, s11
	v_subrev_co_u32_e32 v8, vcc, s10, v8
	v_subb_co_u32_e32 v5, vcc, v9, v5, vcc
	v_mul_lo_u32 v5, v5, s8
	v_mul_lo_u32 v10, v8, s9
	v_mad_u64_u32 v[8:9], s[4:5], v8, s8, 0
	v_add3_u32 v9, v9, v10, v5
	v_or_b32_e32 v5, s44, v9
	v_cmp_ne_u64_e32 vcc, 0, v[4:5]
                                        ; implicit-def: $vgpr10_vgpr11
	s_and_saveexec_b64 s[4:5], vcc
	s_xor_b64 s[36:37], exec, s[4:5]
	s_cbranch_execz .LBB46_20
; %bb.19:                               ;   in Loop: Header=BB46_10 Depth=1
	s_ashr_i32 s38, s44, 31
	s_add_u32 s4, s33, s38
	s_mov_b32 s39, s38
	s_addc_u32 s5, s44, s38
	s_xor_b64 s[40:41], s[4:5], s[38:39]
	v_cvt_f32_u32_e32 v5, s40
	v_cvt_f32_u32_e32 v10, s41
	s_sub_u32 s4, 0, s40
	s_subb_u32 s5, 0, s41
	v_mac_f32_e32 v5, 0x4f800000, v10
	v_rcp_f32_e32 v5, v5
	v_mul_f32_e32 v5, 0x5f7ffffc, v5
	v_mul_f32_e32 v10, 0x2f800000, v5
	v_trunc_f32_e32 v10, v10
	v_mac_f32_e32 v5, 0xcf800000, v10
	v_cvt_u32_f32_e32 v10, v10
	v_cvt_u32_f32_e32 v5, v5
	v_mul_lo_u32 v11, s4, v10
	v_mul_hi_u32 v13, s4, v5
	v_mul_lo_u32 v12, s5, v5
	v_add_u32_e32 v11, v13, v11
	v_mul_lo_u32 v16, s4, v5
	v_add_u32_e32 v11, v11, v12
	v_mul_lo_u32 v13, v5, v11
	v_mul_hi_u32 v17, v5, v16
	v_mul_hi_u32 v12, v5, v11
	v_add_co_u32_e32 v13, vcc, v17, v13
	v_addc_co_u32_e32 v12, vcc, 0, v12, vcc
	v_mul_hi_u32 v18, v10, v16
	v_mul_lo_u32 v16, v10, v16
	v_add_co_u32_e32 v13, vcc, v13, v16
	v_mul_hi_u32 v17, v10, v11
	v_addc_co_u32_e32 v12, vcc, v12, v18, vcc
	v_addc_co_u32_e32 v13, vcc, 0, v17, vcc
	v_mul_lo_u32 v11, v10, v11
	v_add_co_u32_e32 v11, vcc, v12, v11
	v_addc_co_u32_e32 v12, vcc, 0, v13, vcc
	v_add_co_u32_e32 v5, vcc, v5, v11
	v_addc_co_u32_e32 v10, vcc, v10, v12, vcc
	v_mul_lo_u32 v11, s4, v10
	v_mul_hi_u32 v12, s4, v5
	v_add_u32_e32 v11, v12, v11
	v_mul_lo_u32 v12, s5, v5
	v_add_u32_e32 v11, v11, v12
	v_mul_lo_u32 v13, s4, v5
	v_mul_hi_u32 v16, v10, v13
	v_mul_lo_u32 v17, v10, v13
	v_mul_lo_u32 v19, v5, v11
	v_mul_hi_u32 v13, v5, v13
	v_mul_hi_u32 v18, v5, v11
	v_add_co_u32_e32 v13, vcc, v13, v19
	v_addc_co_u32_e32 v18, vcc, 0, v18, vcc
	v_add_co_u32_e32 v13, vcc, v13, v17
	v_mul_hi_u32 v12, v10, v11
	v_addc_co_u32_e32 v13, vcc, v18, v16, vcc
	v_addc_co_u32_e32 v12, vcc, 0, v12, vcc
	v_mul_lo_u32 v11, v10, v11
	v_add_co_u32_e32 v11, vcc, v13, v11
	v_addc_co_u32_e32 v12, vcc, 0, v12, vcc
	v_add_co_u32_e32 v5, vcc, v5, v11
	v_addc_co_u32_e32 v10, vcc, v10, v12, vcc
	v_ashrrev_i32_e32 v12, 31, v9
	v_add_co_u32_e32 v8, vcc, v8, v12
	v_addc_co_u32_e32 v9, vcc, v9, v12, vcc
	v_xor_b32_e32 v16, v8, v12
	v_xor_b32_e32 v13, v9, v12
	v_mad_u64_u32 v[8:9], s[4:5], v16, v10, 0
	v_mul_hi_u32 v11, v16, v5
	v_add_co_u32_e32 v17, vcc, v11, v8
	v_addc_co_u32_e32 v18, vcc, 0, v9, vcc
	v_mad_u64_u32 v[8:9], s[4:5], v13, v10, 0
	v_mad_u64_u32 v[10:11], s[4:5], v13, v5, 0
	v_add_co_u32_e32 v5, vcc, v17, v10
	v_addc_co_u32_e32 v5, vcc, v18, v11, vcc
	v_addc_co_u32_e32 v9, vcc, 0, v9, vcc
	v_add_co_u32_e32 v5, vcc, v5, v8
	v_addc_co_u32_e32 v8, vcc, 0, v9, vcc
	v_mul_lo_u32 v10, s41, v5
	v_mul_lo_u32 v11, s40, v8
	v_mad_u64_u32 v[8:9], s[4:5], s40, v5, 0
	v_add3_u32 v9, v9, v11, v10
	v_sub_u32_e32 v10, v13, v9
	v_mov_b32_e32 v11, s41
	v_sub_co_u32_e32 v8, vcc, v16, v8
	v_subb_co_u32_e64 v10, s[4:5], v10, v11, vcc
	v_subrev_co_u32_e64 v11, s[4:5], s40, v8
	v_subbrev_co_u32_e64 v10, s[4:5], 0, v10, s[4:5]
	v_cmp_le_u32_e64 s[4:5], s41, v10
	v_subb_co_u32_e32 v9, vcc, v13, v9, vcc
	v_cndmask_b32_e64 v16, 0, -1, s[4:5]
	v_cmp_le_u32_e64 s[4:5], s40, v11
	v_cmp_le_u32_e32 vcc, s41, v9
	v_cndmask_b32_e64 v11, 0, -1, s[4:5]
	v_cmp_eq_u32_e64 s[4:5], s41, v10
	v_cndmask_b32_e64 v13, 0, -1, vcc
	v_cmp_le_u32_e32 vcc, s40, v8
	v_cndmask_b32_e64 v10, v16, v11, s[4:5]
	v_cndmask_b32_e64 v8, 0, -1, vcc
	v_cmp_eq_u32_e32 vcc, s41, v9
	v_add_co_u32_e64 v11, s[4:5], 2, v5
	v_add_co_u32_e64 v16, s[4:5], 1, v5
	v_cndmask_b32_e32 v8, v13, v8, vcc
	v_cmp_ne_u32_e32 vcc, 0, v10
	v_cndmask_b32_e32 v9, v16, v11, vcc
	v_cmp_ne_u32_e32 vcc, 0, v8
	v_cndmask_b32_e32 v5, v5, v9, vcc
	v_xor_b32_e32 v8, s38, v12
	v_xor_b32_e32 v5, v5, v8
	v_sub_co_u32_e32 v10, vcc, v5, v8
                                        ; implicit-def: $vgpr8_vgpr9
.LBB46_20:                              ;   in Loop: Header=BB46_10 Depth=1
	s_andn2_saveexec_b64 s[4:5], s[36:37]
	s_cbranch_execz .LBB46_8
; %bb.21:                               ;   in Loop: Header=BB46_10 Depth=1
	v_cvt_f32_u32_e32 v5, s33
	s_sub_i32 s30, 0, s33
	v_rcp_iflag_f32_e32 v5, v5
	v_mul_f32_e32 v5, 0x4f7ffffe, v5
	v_cvt_u32_f32_e32 v5, v5
	v_mul_lo_u32 v9, s30, v5
	v_mul_hi_u32 v9, v5, v9
	v_add_u32_e32 v5, v5, v9
	v_mul_hi_u32 v5, v8, v5
	v_mul_lo_u32 v9, v5, s33
	v_sub_u32_e32 v8, v8, v9
	v_add_u32_e32 v10, 1, v5
	v_subrev_u32_e32 v9, s33, v8
	v_cmp_le_u32_e32 vcc, s33, v8
	v_cndmask_b32_e32 v8, v8, v9, vcc
	v_cndmask_b32_e32 v5, v5, v10, vcc
	v_add_u32_e32 v9, 1, v5
	v_cmp_le_u32_e32 vcc, s33, v8
	v_cndmask_b32_e32 v10, v5, v9, vcc
	s_branch .LBB46_8
.LBB46_22:
	s_or_b64 exec, exec, s[6:7]
; %bb.23:
	s_waitcnt lgkmcnt(0)
	s_barrier
	s_and_saveexec_b64 s[2:3], s[0:1]
	s_cbranch_execz .LBB46_26
; %bb.24:
	v_mad_u64_u32 v[4:5], s[0:1], s20, v0, 0
	v_mov_b32_e32 v6, v5
	v_and_b32_e32 v2, 0xffff, v7
	v_mad_u64_u32 v[6:7], s[0:1], s21, v0, v[6:7]
	v_mov_b32_e32 v5, v6
	v_mad_u64_u32 v[6:7], s[0:1], s20, v2, 0
	v_mov_b32_e32 v8, v7
	v_lshlrev_b64 v[4:5], 3, v[4:5]
	v_mad_u64_u32 v[8:9], s[0:1], s21, v2, v[8:9]
	v_mov_b32_e32 v3, s17
	v_add_co_u32_e32 v4, vcc, s16, v4
	v_mov_b32_e32 v7, v8
	v_addc_co_u32_e32 v5, vcc, v3, v5, vcc
	v_lshlrev_b64 v[6:7], 3, v[6:7]
	v_lshlrev_b32_e32 v3, 3, v15
	s_mov_b64 s[0:1], 0
.LBB46_25:                              ; =>This Inner Loop Header: Depth=1
	ds_read_b64 v[8:9], v14
	v_add_co_u32_e32 v0, vcc, v0, v2
	v_addc_co_u32_e32 v1, vcc, 0, v1, vcc
	s_waitcnt lgkmcnt(0)
	global_atomic_add_f64 v[4:5], v[8:9], off
	v_cmp_le_i64_e32 vcc, s[18:19], v[0:1]
	s_or_b64 s[0:1], vcc, s[0:1]
	v_add_co_u32_e32 v4, vcc, v4, v6
	v_add_u32_e32 v14, v14, v3
	v_addc_co_u32_e32 v5, vcc, v5, v7, vcc
	s_andn2_b64 exec, exec, s[0:1]
	s_cbranch_execnz .LBB46_25
.LBB46_26:
	s_endpgm
	.section	.rodata,"a",@progbits
	.p2align	6, 0x0
	.amdhsa_kernel _ZN2at4cuda17kernelHistogram1DIdllLi1ELi2ELin1ELNS0_23CUDAHistogramMemoryTypeE0EZNS0_21CUDA_tensor_histogramIdlLb1EEEbNS_6TensorES4_S4_lNS_14AccumulateTypeIT0_Lb1EE4typeES8_NS0_13TensorArgTypeES9_S9_EUllE0_EEvNS0_6detail10TensorInfoIT_T1_EESF_NSC_IKS6_SE_EElS8_S8_SE_T6_
		.amdhsa_group_segment_fixed_size 0
		.amdhsa_private_segment_fixed_size 0
		.amdhsa_kernarg_size 1544
		.amdhsa_user_sgpr_count 6
		.amdhsa_user_sgpr_private_segment_buffer 1
		.amdhsa_user_sgpr_dispatch_ptr 0
		.amdhsa_user_sgpr_queue_ptr 0
		.amdhsa_user_sgpr_kernarg_segment_ptr 1
		.amdhsa_user_sgpr_dispatch_id 0
		.amdhsa_user_sgpr_flat_scratch_init 0
		.amdhsa_user_sgpr_kernarg_preload_length 0
		.amdhsa_user_sgpr_kernarg_preload_offset 0
		.amdhsa_user_sgpr_private_segment_size 0
		.amdhsa_uses_dynamic_stack 0
		.amdhsa_system_sgpr_private_segment_wavefront_offset 0
		.amdhsa_system_sgpr_workgroup_id_x 1
		.amdhsa_system_sgpr_workgroup_id_y 0
		.amdhsa_system_sgpr_workgroup_id_z 0
		.amdhsa_system_sgpr_workgroup_info 0
		.amdhsa_system_vgpr_workitem_id 0
		.amdhsa_next_free_vgpr 24
		.amdhsa_next_free_sgpr 46
		.amdhsa_accum_offset 24
		.amdhsa_reserve_vcc 1
		.amdhsa_reserve_flat_scratch 0
		.amdhsa_float_round_mode_32 0
		.amdhsa_float_round_mode_16_64 0
		.amdhsa_float_denorm_mode_32 3
		.amdhsa_float_denorm_mode_16_64 3
		.amdhsa_dx10_clamp 1
		.amdhsa_ieee_mode 1
		.amdhsa_fp16_overflow 0
		.amdhsa_tg_split 0
		.amdhsa_exception_fp_ieee_invalid_op 0
		.amdhsa_exception_fp_denorm_src 0
		.amdhsa_exception_fp_ieee_div_zero 0
		.amdhsa_exception_fp_ieee_overflow 0
		.amdhsa_exception_fp_ieee_underflow 0
		.amdhsa_exception_fp_ieee_inexact 0
		.amdhsa_exception_int_div_zero 0
	.end_amdhsa_kernel
	.section	.text._ZN2at4cuda17kernelHistogram1DIdllLi1ELi2ELin1ELNS0_23CUDAHistogramMemoryTypeE0EZNS0_21CUDA_tensor_histogramIdlLb1EEEbNS_6TensorES4_S4_lNS_14AccumulateTypeIT0_Lb1EE4typeES8_NS0_13TensorArgTypeES9_S9_EUllE0_EEvNS0_6detail10TensorInfoIT_T1_EESF_NSC_IKS6_SE_EElS8_S8_SE_T6_,"axG",@progbits,_ZN2at4cuda17kernelHistogram1DIdllLi1ELi2ELin1ELNS0_23CUDAHistogramMemoryTypeE0EZNS0_21CUDA_tensor_histogramIdlLb1EEEbNS_6TensorES4_S4_lNS_14AccumulateTypeIT0_Lb1EE4typeES8_NS0_13TensorArgTypeES9_S9_EUllE0_EEvNS0_6detail10TensorInfoIT_T1_EESF_NSC_IKS6_SE_EElS8_S8_SE_T6_,comdat
.Lfunc_end46:
	.size	_ZN2at4cuda17kernelHistogram1DIdllLi1ELi2ELin1ELNS0_23CUDAHistogramMemoryTypeE0EZNS0_21CUDA_tensor_histogramIdlLb1EEEbNS_6TensorES4_S4_lNS_14AccumulateTypeIT0_Lb1EE4typeES8_NS0_13TensorArgTypeES9_S9_EUllE0_EEvNS0_6detail10TensorInfoIT_T1_EESF_NSC_IKS6_SE_EElS8_S8_SE_T6_, .Lfunc_end46-_ZN2at4cuda17kernelHistogram1DIdllLi1ELi2ELin1ELNS0_23CUDAHistogramMemoryTypeE0EZNS0_21CUDA_tensor_histogramIdlLb1EEEbNS_6TensorES4_S4_lNS_14AccumulateTypeIT0_Lb1EE4typeES8_NS0_13TensorArgTypeES9_S9_EUllE0_EEvNS0_6detail10TensorInfoIT_T1_EESF_NSC_IKS6_SE_EElS8_S8_SE_T6_
                                        ; -- End function
	.section	.AMDGPU.csdata,"",@progbits
; Kernel info:
; codeLenInByte = 2516
; NumSgprs: 50
; NumVgprs: 24
; NumAgprs: 0
; TotalNumVgprs: 24
; ScratchSize: 0
; MemoryBound: 0
; FloatMode: 240
; IeeeMode: 1
; LDSByteSize: 0 bytes/workgroup (compile time only)
; SGPRBlocks: 6
; VGPRBlocks: 2
; NumSGPRsForWavesPerEU: 50
; NumVGPRsForWavesPerEU: 24
; AccumOffset: 24
; Occupancy: 8
; WaveLimiterHint : 1
; COMPUTE_PGM_RSRC2:SCRATCH_EN: 0
; COMPUTE_PGM_RSRC2:USER_SGPR: 6
; COMPUTE_PGM_RSRC2:TRAP_HANDLER: 0
; COMPUTE_PGM_RSRC2:TGID_X_EN: 1
; COMPUTE_PGM_RSRC2:TGID_Y_EN: 0
; COMPUTE_PGM_RSRC2:TGID_Z_EN: 0
; COMPUTE_PGM_RSRC2:TIDIG_COMP_CNT: 0
; COMPUTE_PGM_RSRC3_GFX90A:ACCUM_OFFSET: 5
; COMPUTE_PGM_RSRC3_GFX90A:TG_SPLIT: 0
	.section	.text._ZN2at4cuda17kernelHistogram1DIdllLi1ELi2ELin1ELNS0_23CUDAHistogramMemoryTypeE1EZNS0_21CUDA_tensor_histogramIdlLb1EEEbNS_6TensorES4_S4_lNS_14AccumulateTypeIT0_Lb1EE4typeES8_NS0_13TensorArgTypeES9_S9_EUllE0_EEvNS0_6detail10TensorInfoIT_T1_EESF_NSC_IKS6_SE_EElS8_S8_SE_T6_,"axG",@progbits,_ZN2at4cuda17kernelHistogram1DIdllLi1ELi2ELin1ELNS0_23CUDAHistogramMemoryTypeE1EZNS0_21CUDA_tensor_histogramIdlLb1EEEbNS_6TensorES4_S4_lNS_14AccumulateTypeIT0_Lb1EE4typeES8_NS0_13TensorArgTypeES9_S9_EUllE0_EEvNS0_6detail10TensorInfoIT_T1_EESF_NSC_IKS6_SE_EElS8_S8_SE_T6_,comdat
	.protected	_ZN2at4cuda17kernelHistogram1DIdllLi1ELi2ELin1ELNS0_23CUDAHistogramMemoryTypeE1EZNS0_21CUDA_tensor_histogramIdlLb1EEEbNS_6TensorES4_S4_lNS_14AccumulateTypeIT0_Lb1EE4typeES8_NS0_13TensorArgTypeES9_S9_EUllE0_EEvNS0_6detail10TensorInfoIT_T1_EESF_NSC_IKS6_SE_EElS8_S8_SE_T6_ ; -- Begin function _ZN2at4cuda17kernelHistogram1DIdllLi1ELi2ELin1ELNS0_23CUDAHistogramMemoryTypeE1EZNS0_21CUDA_tensor_histogramIdlLb1EEEbNS_6TensorES4_S4_lNS_14AccumulateTypeIT0_Lb1EE4typeES8_NS0_13TensorArgTypeES9_S9_EUllE0_EEvNS0_6detail10TensorInfoIT_T1_EESF_NSC_IKS6_SE_EElS8_S8_SE_T6_
	.globl	_ZN2at4cuda17kernelHistogram1DIdllLi1ELi2ELin1ELNS0_23CUDAHistogramMemoryTypeE1EZNS0_21CUDA_tensor_histogramIdlLb1EEEbNS_6TensorES4_S4_lNS_14AccumulateTypeIT0_Lb1EE4typeES8_NS0_13TensorArgTypeES9_S9_EUllE0_EEvNS0_6detail10TensorInfoIT_T1_EESF_NSC_IKS6_SE_EElS8_S8_SE_T6_
	.p2align	8
	.type	_ZN2at4cuda17kernelHistogram1DIdllLi1ELi2ELin1ELNS0_23CUDAHistogramMemoryTypeE1EZNS0_21CUDA_tensor_histogramIdlLb1EEEbNS_6TensorES4_S4_lNS_14AccumulateTypeIT0_Lb1EE4typeES8_NS0_13TensorArgTypeES9_S9_EUllE0_EEvNS0_6detail10TensorInfoIT_T1_EESF_NSC_IKS6_SE_EElS8_S8_SE_T6_,@function
_ZN2at4cuda17kernelHistogram1DIdllLi1ELi2ELin1ELNS0_23CUDAHistogramMemoryTypeE1EZNS0_21CUDA_tensor_histogramIdlLb1EEEbNS_6TensorES4_S4_lNS_14AccumulateTypeIT0_Lb1EE4typeES8_NS0_13TensorArgTypeES9_S9_EUllE0_EEvNS0_6detail10TensorInfoIT_T1_EESF_NSC_IKS6_SE_EElS8_S8_SE_T6_: ; @_ZN2at4cuda17kernelHistogram1DIdllLi1ELi2ELin1ELNS0_23CUDAHistogramMemoryTypeE1EZNS0_21CUDA_tensor_histogramIdlLb1EEEbNS_6TensorES4_S4_lNS_14AccumulateTypeIT0_Lb1EE4typeES8_NS0_13TensorArgTypeES9_S9_EUllE0_EEvNS0_6detail10TensorInfoIT_T1_EESF_NSC_IKS6_SE_EElS8_S8_SE_T6_
; %bb.0:
	s_load_dword s2, s[4:5], 0x514
	s_load_dwordx8 s[8:15], s[4:5], 0x4e0
	s_add_u32 s0, s4, 0x508
	s_addc_u32 s1, s5, 0
	v_mov_b32_e32 v2, 0
	s_waitcnt lgkmcnt(0)
	s_and_b32 s2, s2, 0xffff
	s_mul_i32 s6, s6, s2
	v_add_u32_e32 v0, s6, v0
	v_mov_b32_e32 v1, v2
	v_cmp_gt_i64_e32 vcc, s[14:15], v[0:1]
	s_and_saveexec_b64 s[6:7], vcc
	s_cbranch_execz .LBB47_16
; %bb.1:
	s_load_dword s3, s[4:5], 0x4d8
	s_load_dwordx2 s[6:7], s[4:5], 0x0
	s_load_dwordx2 s[16:17], s[4:5], 0xd0
	s_load_dword s24, s[0:1], 0x0
	s_add_u32 s22, s4, 0x340
	s_addc_u32 s23, s5, 0
	s_mov_b32 s38, 0
	s_waitcnt lgkmcnt(0)
	s_cmp_gt_i32 s3, 1
	s_cselect_b64 s[0:1], -1, 0
	s_sub_u32 s33, s12, s10
	s_subb_u32 s36, s13, s11
	s_mul_i32 s37, s24, s2
	s_add_i32 s39, s3, 1
	s_add_i32 s2, s3, -1
	s_mov_b32 s3, s38
	s_load_dwordx2 s[18:19], s[4:5], 0x410
	s_load_dwordx2 s[20:21], s[4:5], 0x340
	s_lshl_b64 s[2:3], s[2:3], 3
	s_add_u32 s2, s2, s22
	s_addc_u32 s3, s3, s23
	s_add_u32 s4, s2, 8
	v_cndmask_b32_e64 v3, 0, 1, s[0:1]
	s_addc_u32 s5, s3, 0
	s_mov_b64 s[22:23], 0
	v_cmp_ne_u32_e64 s[0:1], 1, v3
	s_branch .LBB47_4
.LBB47_2:                               ;   in Loop: Header=BB47_4 Depth=1
	s_or_b64 exec, exec, s[2:3]
	v_ashrrev_i32_e32 v7, 31, v6
	v_cmp_eq_u64_e32 vcc, s[8:9], v[6:7]
	v_cndmask_b32_e64 v3, 0, 1, vcc
	v_sub_co_u32_e32 v3, vcc, v6, v3
	v_subbrev_co_u32_e32 v4, vcc, 0, v7, vcc
	v_mul_lo_u32 v6, v4, s16
	v_mul_lo_u32 v7, v3, s17
	v_mad_u64_u32 v[4:5], s[2:3], v3, s16, 0
	v_add3_u32 v5, v5, v7, v6
	v_lshlrev_b64 v[4:5], 3, v[4:5]
	v_mov_b32_e32 v3, s7
	v_add_co_u32_e32 v4, vcc, s6, v4
	v_mov_b32_e32 v6, 0
	v_addc_co_u32_e32 v5, vcc, v3, v5, vcc
	v_mov_b32_e32 v7, 0x3ff00000
	global_atomic_add_f64 v[4:5], v[6:7], off
.LBB47_3:                               ;   in Loop: Header=BB47_4 Depth=1
	s_or_b64 exec, exec, s[24:25]
	v_mov_b32_e32 v3, s38
	v_add_co_u32_e32 v0, vcc, s37, v0
	v_addc_co_u32_e32 v1, vcc, v1, v3, vcc
	v_cmp_le_i64_e32 vcc, s[14:15], v[0:1]
	s_or_b64 s[22:23], vcc, s[22:23]
	s_andn2_b64 exec, exec, s[22:23]
	s_cbranch_execz .LBB47_16
.LBB47_4:                               ; =>This Loop Header: Depth=1
                                        ;     Child Loop BB47_5 Depth 2
	s_and_b64 vcc, exec, s[0:1]
	v_pk_mov_b32 v[4:5], 0, 0
	s_mov_b64 s[24:25], s[4:5]
	s_mov_b32 s40, s39
	v_pk_mov_b32 v[6:7], v[0:1], v[0:1] op_sel:[0,1]
	v_pk_mov_b32 v[8:9], v[0:1], v[0:1] op_sel:[0,1]
	s_cbranch_vccnz .LBB47_11
.LBB47_5:                               ;   Parent Loop BB47_4 Depth=1
                                        ; =>  This Inner Loop Header: Depth=2
	s_load_dwordx2 s[26:27], s[24:25], 0x0
                                        ; implicit-def: $vgpr8_vgpr9
	s_waitcnt lgkmcnt(0)
	v_or_b32_e32 v3, s27, v7
	v_cmp_ne_u64_e32 vcc, 0, v[2:3]
	s_and_saveexec_b64 s[2:3], vcc
	s_xor_b64 s[28:29], exec, s[2:3]
	s_cbranch_execz .LBB47_7
; %bb.6:                                ;   in Loop: Header=BB47_5 Depth=2
	s_ashr_i32 s30, s27, 31
	s_add_u32 s2, s26, s30
	s_mov_b32 s31, s30
	s_addc_u32 s3, s27, s30
	s_xor_b64 s[34:35], s[2:3], s[30:31]
	v_cvt_f32_u32_e32 v3, s34
	v_cvt_f32_u32_e32 v8, s35
	s_sub_u32 s2, 0, s34
	s_subb_u32 s3, 0, s35
	v_mac_f32_e32 v3, 0x4f800000, v8
	v_rcp_f32_e32 v3, v3
	v_mul_f32_e32 v3, 0x5f7ffffc, v3
	v_mul_f32_e32 v8, 0x2f800000, v3
	v_trunc_f32_e32 v8, v8
	v_mac_f32_e32 v3, 0xcf800000, v8
	v_cvt_u32_f32_e32 v8, v8
	v_cvt_u32_f32_e32 v3, v3
	v_mul_lo_u32 v9, s2, v8
	v_mul_hi_u32 v11, s2, v3
	v_mul_lo_u32 v10, s3, v3
	v_add_u32_e32 v9, v11, v9
	v_mul_lo_u32 v12, s2, v3
	v_add_u32_e32 v9, v9, v10
	v_mul_lo_u32 v11, v3, v9
	v_mul_hi_u32 v13, v3, v12
	v_mul_hi_u32 v10, v3, v9
	v_add_co_u32_e32 v11, vcc, v13, v11
	v_addc_co_u32_e32 v10, vcc, 0, v10, vcc
	v_mul_hi_u32 v14, v8, v12
	v_mul_lo_u32 v12, v8, v12
	v_add_co_u32_e32 v11, vcc, v11, v12
	v_mul_hi_u32 v13, v8, v9
	v_addc_co_u32_e32 v10, vcc, v10, v14, vcc
	v_addc_co_u32_e32 v11, vcc, 0, v13, vcc
	v_mul_lo_u32 v9, v8, v9
	v_add_co_u32_e32 v9, vcc, v10, v9
	v_addc_co_u32_e32 v10, vcc, 0, v11, vcc
	v_add_co_u32_e32 v3, vcc, v3, v9
	v_addc_co_u32_e32 v8, vcc, v8, v10, vcc
	v_mul_lo_u32 v9, s2, v8
	v_mul_hi_u32 v10, s2, v3
	v_add_u32_e32 v9, v10, v9
	v_mul_lo_u32 v10, s3, v3
	v_add_u32_e32 v9, v9, v10
	v_mul_lo_u32 v11, s2, v3
	v_mul_hi_u32 v12, v8, v11
	v_mul_lo_u32 v13, v8, v11
	v_mul_lo_u32 v15, v3, v9
	v_mul_hi_u32 v11, v3, v11
	v_mul_hi_u32 v14, v3, v9
	v_add_co_u32_e32 v11, vcc, v11, v15
	v_addc_co_u32_e32 v14, vcc, 0, v14, vcc
	v_add_co_u32_e32 v11, vcc, v11, v13
	v_mul_hi_u32 v10, v8, v9
	v_addc_co_u32_e32 v11, vcc, v14, v12, vcc
	v_addc_co_u32_e32 v10, vcc, 0, v10, vcc
	v_mul_lo_u32 v9, v8, v9
	v_add_co_u32_e32 v9, vcc, v11, v9
	v_addc_co_u32_e32 v10, vcc, 0, v10, vcc
	v_add_co_u32_e32 v3, vcc, v3, v9
	v_addc_co_u32_e32 v10, vcc, v8, v10, vcc
	v_ashrrev_i32_e32 v12, 31, v7
	v_add_co_u32_e32 v8, vcc, v6, v12
	v_addc_co_u32_e32 v9, vcc, v7, v12, vcc
	v_xor_b32_e32 v14, v8, v12
	v_xor_b32_e32 v13, v9, v12
	v_mad_u64_u32 v[8:9], s[2:3], v14, v10, 0
	v_mul_hi_u32 v11, v14, v3
	v_add_co_u32_e32 v15, vcc, v11, v8
	v_addc_co_u32_e32 v16, vcc, 0, v9, vcc
	v_mad_u64_u32 v[8:9], s[2:3], v13, v10, 0
	v_mad_u64_u32 v[10:11], s[2:3], v13, v3, 0
	v_add_co_u32_e32 v3, vcc, v15, v10
	v_addc_co_u32_e32 v3, vcc, v16, v11, vcc
	v_addc_co_u32_e32 v9, vcc, 0, v9, vcc
	v_add_co_u32_e32 v3, vcc, v3, v8
	v_addc_co_u32_e32 v10, vcc, 0, v9, vcc
	v_mul_lo_u32 v11, s35, v3
	v_mul_lo_u32 v15, s34, v10
	v_mad_u64_u32 v[8:9], s[2:3], s34, v3, 0
	v_add3_u32 v9, v9, v15, v11
	v_sub_u32_e32 v11, v13, v9
	v_mov_b32_e32 v15, s35
	v_sub_co_u32_e32 v8, vcc, v14, v8
	v_subb_co_u32_e64 v11, s[2:3], v11, v15, vcc
	v_subrev_co_u32_e64 v14, s[2:3], s34, v8
	v_subbrev_co_u32_e64 v11, s[2:3], 0, v11, s[2:3]
	v_cmp_le_u32_e64 s[2:3], s35, v11
	v_cndmask_b32_e64 v15, 0, -1, s[2:3]
	v_cmp_le_u32_e64 s[2:3], s34, v14
	v_cndmask_b32_e64 v14, 0, -1, s[2:3]
	v_cmp_eq_u32_e64 s[2:3], s35, v11
	v_cndmask_b32_e64 v11, v15, v14, s[2:3]
	v_add_co_u32_e64 v14, s[2:3], 2, v3
	v_subb_co_u32_e32 v9, vcc, v13, v9, vcc
	v_addc_co_u32_e64 v15, s[2:3], 0, v10, s[2:3]
	v_cmp_le_u32_e32 vcc, s35, v9
	v_add_co_u32_e64 v16, s[2:3], 1, v3
	v_cndmask_b32_e64 v13, 0, -1, vcc
	v_cmp_le_u32_e32 vcc, s34, v8
	v_addc_co_u32_e64 v17, s[2:3], 0, v10, s[2:3]
	v_cndmask_b32_e64 v8, 0, -1, vcc
	v_cmp_eq_u32_e32 vcc, s35, v9
	v_cmp_ne_u32_e64 s[2:3], 0, v11
	v_cndmask_b32_e32 v8, v13, v8, vcc
	v_cmp_ne_u32_e32 vcc, 0, v8
	v_cndmask_b32_e64 v9, v16, v14, s[2:3]
	v_cndmask_b32_e64 v11, v17, v15, s[2:3]
	v_cndmask_b32_e32 v3, v3, v9, vcc
	v_xor_b32_e32 v9, s30, v12
	v_cndmask_b32_e32 v8, v10, v11, vcc
	v_xor_b32_e32 v3, v3, v9
	v_xor_b32_e32 v10, v8, v9
	v_sub_co_u32_e32 v8, vcc, v3, v9
	v_subb_co_u32_e32 v9, vcc, v10, v9, vcc
.LBB47_7:                               ;   in Loop: Header=BB47_5 Depth=2
	s_andn2_saveexec_b64 s[2:3], s[28:29]
	s_cbranch_execz .LBB47_9
; %bb.8:                                ;   in Loop: Header=BB47_5 Depth=2
	v_cvt_f32_u32_e32 v3, s26
	s_sub_i32 s28, 0, s26
	v_rcp_iflag_f32_e32 v3, v3
	v_mul_f32_e32 v3, 0x4f7ffffe, v3
	v_cvt_u32_f32_e32 v3, v3
	v_mul_lo_u32 v8, s28, v3
	v_mul_hi_u32 v8, v3, v8
	v_add_u32_e32 v3, v3, v8
	v_mul_hi_u32 v3, v6, v3
	v_mul_lo_u32 v8, v3, s26
	v_sub_u32_e32 v8, v6, v8
	v_add_u32_e32 v9, 1, v3
	v_subrev_u32_e32 v10, s26, v8
	v_cmp_le_u32_e32 vcc, s26, v8
	v_cndmask_b32_e32 v8, v8, v10, vcc
	v_cndmask_b32_e32 v3, v3, v9, vcc
	v_add_u32_e32 v9, 1, v3
	v_cmp_le_u32_e32 vcc, s26, v8
	v_cndmask_b32_e32 v8, v3, v9, vcc
	v_mov_b32_e32 v9, v2
.LBB47_9:                               ;   in Loop: Header=BB47_5 Depth=2
	s_or_b64 exec, exec, s[2:3]
	v_mad_u64_u32 v[10:11], s[2:3], v8, s26, 0
	s_load_dwordx2 s[2:3], s[24:25], 0xc8
	v_mul_lo_u32 v3, v9, s26
	v_mul_lo_u32 v12, v8, s27
	v_add3_u32 v3, v11, v12, v3
	v_sub_co_u32_e32 v6, vcc, v6, v10
	s_add_i32 s40, s40, -1
	v_subb_co_u32_e32 v3, vcc, v7, v3, vcc
	s_add_u32 s24, s24, -8
	s_waitcnt lgkmcnt(0)
	v_mul_lo_u32 v3, s2, v3
	v_mul_lo_u32 v7, s3, v6
	v_mad_u64_u32 v[4:5], s[2:3], s2, v6, v[4:5]
	s_addc_u32 s25, s25, -1
	s_cmp_gt_u32 s40, 2
	v_add3_u32 v5, v7, v5, v3
	s_cbranch_scc0 .LBB47_11
; %bb.10:                               ;   in Loop: Header=BB47_5 Depth=2
	v_pk_mov_b32 v[6:7], v[8:9], v[8:9] op_sel:[0,1]
	s_branch .LBB47_5
.LBB47_11:                              ;   in Loop: Header=BB47_4 Depth=1
	s_waitcnt lgkmcnt(0)
	v_mul_lo_u32 v3, s19, v8
	v_mul_lo_u32 v9, s18, v9
	v_mad_u64_u32 v[6:7], s[2:3], s18, v8, 0
	v_add3_u32 v7, v7, v9, v3
	v_lshlrev_b64 v[6:7], 3, v[6:7]
	v_mov_b32_e32 v3, s21
	v_add_co_u32_e32 v6, vcc, s20, v6
	v_addc_co_u32_e32 v3, vcc, v3, v7, vcc
	v_lshlrev_b64 v[4:5], 3, v[4:5]
	v_add_co_u32_e32 v4, vcc, v6, v4
	v_addc_co_u32_e32 v5, vcc, v3, v5, vcc
	global_load_dwordx2 v[4:5], v[4:5], off
	s_waitcnt vmcnt(0)
	v_cmp_le_i64_e32 vcc, s[10:11], v[4:5]
	v_cmp_ge_i64_e64 s[2:3], s[12:13], v[4:5]
	s_and_b64 s[2:3], vcc, s[2:3]
	s_and_saveexec_b64 s[24:25], s[2:3]
	s_cbranch_execz .LBB47_3
; %bb.12:                               ;   in Loop: Header=BB47_4 Depth=1
	v_mov_b32_e32 v3, s11
	v_subrev_co_u32_e32 v4, vcc, s10, v4
	v_subb_co_u32_e32 v3, vcc, v5, v3, vcc
	v_mul_lo_u32 v3, v3, s8
	v_mul_lo_u32 v6, v4, s9
	v_mad_u64_u32 v[4:5], s[2:3], v4, s8, 0
	v_add3_u32 v5, v5, v6, v3
	v_or_b32_e32 v3, s36, v5
	v_cmp_ne_u64_e32 vcc, 0, v[2:3]
                                        ; implicit-def: $vgpr6_vgpr7
	s_and_saveexec_b64 s[2:3], vcc
	s_xor_b64 s[26:27], exec, s[2:3]
	s_cbranch_execz .LBB47_14
; %bb.13:                               ;   in Loop: Header=BB47_4 Depth=1
	s_ashr_i32 s28, s36, 31
	s_add_u32 s2, s33, s28
	s_mov_b32 s29, s28
	s_addc_u32 s3, s36, s28
	s_xor_b64 s[30:31], s[2:3], s[28:29]
	v_cvt_f32_u32_e32 v3, s30
	v_cvt_f32_u32_e32 v6, s31
	s_sub_u32 s2, 0, s30
	s_subb_u32 s3, 0, s31
	v_mac_f32_e32 v3, 0x4f800000, v6
	v_rcp_f32_e32 v3, v3
	v_mul_f32_e32 v3, 0x5f7ffffc, v3
	v_mul_f32_e32 v6, 0x2f800000, v3
	v_trunc_f32_e32 v6, v6
	v_mac_f32_e32 v3, 0xcf800000, v6
	v_cvt_u32_f32_e32 v6, v6
	v_cvt_u32_f32_e32 v3, v3
	v_mul_lo_u32 v7, s2, v6
	v_mul_hi_u32 v9, s2, v3
	v_mul_lo_u32 v8, s3, v3
	v_add_u32_e32 v7, v9, v7
	v_mul_lo_u32 v10, s2, v3
	v_add_u32_e32 v7, v7, v8
	v_mul_lo_u32 v9, v3, v7
	v_mul_hi_u32 v11, v3, v10
	v_mul_hi_u32 v8, v3, v7
	v_add_co_u32_e32 v9, vcc, v11, v9
	v_addc_co_u32_e32 v8, vcc, 0, v8, vcc
	v_mul_hi_u32 v12, v6, v10
	v_mul_lo_u32 v10, v6, v10
	v_add_co_u32_e32 v9, vcc, v9, v10
	v_mul_hi_u32 v11, v6, v7
	v_addc_co_u32_e32 v8, vcc, v8, v12, vcc
	v_addc_co_u32_e32 v9, vcc, 0, v11, vcc
	v_mul_lo_u32 v7, v6, v7
	v_add_co_u32_e32 v7, vcc, v8, v7
	v_addc_co_u32_e32 v8, vcc, 0, v9, vcc
	v_add_co_u32_e32 v3, vcc, v3, v7
	v_addc_co_u32_e32 v6, vcc, v6, v8, vcc
	v_mul_lo_u32 v7, s2, v6
	v_mul_hi_u32 v8, s2, v3
	v_add_u32_e32 v7, v8, v7
	v_mul_lo_u32 v8, s3, v3
	v_add_u32_e32 v7, v7, v8
	v_mul_lo_u32 v9, s2, v3
	v_mul_hi_u32 v10, v6, v9
	v_mul_lo_u32 v11, v6, v9
	v_mul_lo_u32 v13, v3, v7
	v_mul_hi_u32 v9, v3, v9
	v_mul_hi_u32 v12, v3, v7
	v_add_co_u32_e32 v9, vcc, v9, v13
	v_addc_co_u32_e32 v12, vcc, 0, v12, vcc
	v_add_co_u32_e32 v9, vcc, v9, v11
	v_mul_hi_u32 v8, v6, v7
	v_addc_co_u32_e32 v9, vcc, v12, v10, vcc
	v_addc_co_u32_e32 v8, vcc, 0, v8, vcc
	v_mul_lo_u32 v7, v6, v7
	v_add_co_u32_e32 v7, vcc, v9, v7
	v_addc_co_u32_e32 v8, vcc, 0, v8, vcc
	v_add_co_u32_e32 v3, vcc, v3, v7
	v_addc_co_u32_e32 v6, vcc, v6, v8, vcc
	v_ashrrev_i32_e32 v8, 31, v5
	v_add_co_u32_e32 v4, vcc, v4, v8
	v_addc_co_u32_e32 v5, vcc, v5, v8, vcc
	v_xor_b32_e32 v10, v4, v8
	v_xor_b32_e32 v9, v5, v8
	v_mad_u64_u32 v[4:5], s[2:3], v10, v6, 0
	v_mul_hi_u32 v7, v10, v3
	v_add_co_u32_e32 v11, vcc, v7, v4
	v_addc_co_u32_e32 v12, vcc, 0, v5, vcc
	v_mad_u64_u32 v[4:5], s[2:3], v9, v6, 0
	v_mad_u64_u32 v[6:7], s[2:3], v9, v3, 0
	v_add_co_u32_e32 v3, vcc, v11, v6
	v_addc_co_u32_e32 v3, vcc, v12, v7, vcc
	v_addc_co_u32_e32 v5, vcc, 0, v5, vcc
	v_add_co_u32_e32 v3, vcc, v3, v4
	v_addc_co_u32_e32 v4, vcc, 0, v5, vcc
	v_mul_lo_u32 v6, s31, v3
	v_mul_lo_u32 v7, s30, v4
	v_mad_u64_u32 v[4:5], s[2:3], s30, v3, 0
	v_add3_u32 v5, v5, v7, v6
	v_sub_u32_e32 v6, v9, v5
	v_mov_b32_e32 v7, s31
	v_sub_co_u32_e32 v4, vcc, v10, v4
	v_subb_co_u32_e64 v6, s[2:3], v6, v7, vcc
	v_subrev_co_u32_e64 v7, s[2:3], s30, v4
	v_subbrev_co_u32_e64 v6, s[2:3], 0, v6, s[2:3]
	v_cmp_le_u32_e64 s[2:3], s31, v6
	v_subb_co_u32_e32 v5, vcc, v9, v5, vcc
	v_cndmask_b32_e64 v10, 0, -1, s[2:3]
	v_cmp_le_u32_e64 s[2:3], s30, v7
	v_cmp_le_u32_e32 vcc, s31, v5
	v_cndmask_b32_e64 v7, 0, -1, s[2:3]
	v_cmp_eq_u32_e64 s[2:3], s31, v6
	v_cndmask_b32_e64 v9, 0, -1, vcc
	v_cmp_le_u32_e32 vcc, s30, v4
	v_cndmask_b32_e64 v6, v10, v7, s[2:3]
	v_cndmask_b32_e64 v4, 0, -1, vcc
	v_cmp_eq_u32_e32 vcc, s31, v5
	v_add_co_u32_e64 v7, s[2:3], 2, v3
	v_add_co_u32_e64 v10, s[2:3], 1, v3
	v_cndmask_b32_e32 v4, v9, v4, vcc
	v_cmp_ne_u32_e32 vcc, 0, v6
	v_cndmask_b32_e32 v5, v10, v7, vcc
	v_cmp_ne_u32_e32 vcc, 0, v4
	v_cndmask_b32_e32 v3, v3, v5, vcc
	v_xor_b32_e32 v4, s28, v8
	v_xor_b32_e32 v3, v3, v4
	v_sub_co_u32_e32 v6, vcc, v3, v4
                                        ; implicit-def: $vgpr4_vgpr5
.LBB47_14:                              ;   in Loop: Header=BB47_4 Depth=1
	s_andn2_saveexec_b64 s[2:3], s[26:27]
	s_cbranch_execz .LBB47_2
; %bb.15:                               ;   in Loop: Header=BB47_4 Depth=1
	v_cvt_f32_u32_e32 v3, s33
	s_sub_i32 s26, 0, s33
	v_rcp_iflag_f32_e32 v3, v3
	v_mul_f32_e32 v3, 0x4f7ffffe, v3
	v_cvt_u32_f32_e32 v3, v3
	v_mul_lo_u32 v5, s26, v3
	v_mul_hi_u32 v5, v3, v5
	v_add_u32_e32 v3, v3, v5
	v_mul_hi_u32 v3, v4, v3
	v_mul_lo_u32 v5, v3, s33
	v_sub_u32_e32 v4, v4, v5
	v_add_u32_e32 v6, 1, v3
	v_subrev_u32_e32 v5, s33, v4
	v_cmp_le_u32_e32 vcc, s33, v4
	v_cndmask_b32_e32 v4, v4, v5, vcc
	v_cndmask_b32_e32 v3, v3, v6, vcc
	v_add_u32_e32 v5, 1, v3
	v_cmp_le_u32_e32 vcc, s33, v4
	v_cndmask_b32_e32 v6, v3, v5, vcc
	s_branch .LBB47_2
.LBB47_16:
	s_endpgm
	.section	.rodata,"a",@progbits
	.p2align	6, 0x0
	.amdhsa_kernel _ZN2at4cuda17kernelHistogram1DIdllLi1ELi2ELin1ELNS0_23CUDAHistogramMemoryTypeE1EZNS0_21CUDA_tensor_histogramIdlLb1EEEbNS_6TensorES4_S4_lNS_14AccumulateTypeIT0_Lb1EE4typeES8_NS0_13TensorArgTypeES9_S9_EUllE0_EEvNS0_6detail10TensorInfoIT_T1_EESF_NSC_IKS6_SE_EElS8_S8_SE_T6_
		.amdhsa_group_segment_fixed_size 0
		.amdhsa_private_segment_fixed_size 0
		.amdhsa_kernarg_size 1544
		.amdhsa_user_sgpr_count 6
		.amdhsa_user_sgpr_private_segment_buffer 1
		.amdhsa_user_sgpr_dispatch_ptr 0
		.amdhsa_user_sgpr_queue_ptr 0
		.amdhsa_user_sgpr_kernarg_segment_ptr 1
		.amdhsa_user_sgpr_dispatch_id 0
		.amdhsa_user_sgpr_flat_scratch_init 0
		.amdhsa_user_sgpr_kernarg_preload_length 0
		.amdhsa_user_sgpr_kernarg_preload_offset 0
		.amdhsa_user_sgpr_private_segment_size 0
		.amdhsa_uses_dynamic_stack 0
		.amdhsa_system_sgpr_private_segment_wavefront_offset 0
		.amdhsa_system_sgpr_workgroup_id_x 1
		.amdhsa_system_sgpr_workgroup_id_y 0
		.amdhsa_system_sgpr_workgroup_id_z 0
		.amdhsa_system_sgpr_workgroup_info 0
		.amdhsa_system_vgpr_workitem_id 0
		.amdhsa_next_free_vgpr 18
		.amdhsa_next_free_sgpr 41
		.amdhsa_accum_offset 20
		.amdhsa_reserve_vcc 1
		.amdhsa_reserve_flat_scratch 0
		.amdhsa_float_round_mode_32 0
		.amdhsa_float_round_mode_16_64 0
		.amdhsa_float_denorm_mode_32 3
		.amdhsa_float_denorm_mode_16_64 3
		.amdhsa_dx10_clamp 1
		.amdhsa_ieee_mode 1
		.amdhsa_fp16_overflow 0
		.amdhsa_tg_split 0
		.amdhsa_exception_fp_ieee_invalid_op 0
		.amdhsa_exception_fp_denorm_src 0
		.amdhsa_exception_fp_ieee_div_zero 0
		.amdhsa_exception_fp_ieee_overflow 0
		.amdhsa_exception_fp_ieee_underflow 0
		.amdhsa_exception_fp_ieee_inexact 0
		.amdhsa_exception_int_div_zero 0
	.end_amdhsa_kernel
	.section	.text._ZN2at4cuda17kernelHistogram1DIdllLi1ELi2ELin1ELNS0_23CUDAHistogramMemoryTypeE1EZNS0_21CUDA_tensor_histogramIdlLb1EEEbNS_6TensorES4_S4_lNS_14AccumulateTypeIT0_Lb1EE4typeES8_NS0_13TensorArgTypeES9_S9_EUllE0_EEvNS0_6detail10TensorInfoIT_T1_EESF_NSC_IKS6_SE_EElS8_S8_SE_T6_,"axG",@progbits,_ZN2at4cuda17kernelHistogram1DIdllLi1ELi2ELin1ELNS0_23CUDAHistogramMemoryTypeE1EZNS0_21CUDA_tensor_histogramIdlLb1EEEbNS_6TensorES4_S4_lNS_14AccumulateTypeIT0_Lb1EE4typeES8_NS0_13TensorArgTypeES9_S9_EUllE0_EEvNS0_6detail10TensorInfoIT_T1_EESF_NSC_IKS6_SE_EElS8_S8_SE_T6_,comdat
.Lfunc_end47:
	.size	_ZN2at4cuda17kernelHistogram1DIdllLi1ELi2ELin1ELNS0_23CUDAHistogramMemoryTypeE1EZNS0_21CUDA_tensor_histogramIdlLb1EEEbNS_6TensorES4_S4_lNS_14AccumulateTypeIT0_Lb1EE4typeES8_NS0_13TensorArgTypeES9_S9_EUllE0_EEvNS0_6detail10TensorInfoIT_T1_EESF_NSC_IKS6_SE_EElS8_S8_SE_T6_, .Lfunc_end47-_ZN2at4cuda17kernelHistogram1DIdllLi1ELi2ELin1ELNS0_23CUDAHistogramMemoryTypeE1EZNS0_21CUDA_tensor_histogramIdlLb1EEEbNS_6TensorES4_S4_lNS_14AccumulateTypeIT0_Lb1EE4typeES8_NS0_13TensorArgTypeES9_S9_EUllE0_EEvNS0_6detail10TensorInfoIT_T1_EESF_NSC_IKS6_SE_EElS8_S8_SE_T6_
                                        ; -- End function
	.section	.AMDGPU.csdata,"",@progbits
; Kernel info:
; codeLenInByte = 2220
; NumSgprs: 45
; NumVgprs: 18
; NumAgprs: 0
; TotalNumVgprs: 18
; ScratchSize: 0
; MemoryBound: 0
; FloatMode: 240
; IeeeMode: 1
; LDSByteSize: 0 bytes/workgroup (compile time only)
; SGPRBlocks: 5
; VGPRBlocks: 2
; NumSGPRsForWavesPerEU: 45
; NumVGPRsForWavesPerEU: 18
; AccumOffset: 20
; Occupancy: 8
; WaveLimiterHint : 1
; COMPUTE_PGM_RSRC2:SCRATCH_EN: 0
; COMPUTE_PGM_RSRC2:USER_SGPR: 6
; COMPUTE_PGM_RSRC2:TRAP_HANDLER: 0
; COMPUTE_PGM_RSRC2:TGID_X_EN: 1
; COMPUTE_PGM_RSRC2:TGID_Y_EN: 0
; COMPUTE_PGM_RSRC2:TGID_Z_EN: 0
; COMPUTE_PGM_RSRC2:TIDIG_COMP_CNT: 0
; COMPUTE_PGM_RSRC3_GFX90A:ACCUM_OFFSET: 4
; COMPUTE_PGM_RSRC3_GFX90A:TG_SPLIT: 0
	.section	.text._ZN2at4cuda17kernelHistogram1DIfslLi1ELi2ELin1ELNS0_23CUDAHistogramMemoryTypeE0EZNS0_21CUDA_tensor_histogramIfsLb1EEEbNS_6TensorES4_S4_lNS_14AccumulateTypeIT0_Lb1EE4typeES8_NS0_13TensorArgTypeES9_S9_EUllE_EEvNS0_6detail10TensorInfoIT_T1_EESF_NSC_IKS6_SE_EElS8_S8_SE_T6_,"axG",@progbits,_ZN2at4cuda17kernelHistogram1DIfslLi1ELi2ELin1ELNS0_23CUDAHistogramMemoryTypeE0EZNS0_21CUDA_tensor_histogramIfsLb1EEEbNS_6TensorES4_S4_lNS_14AccumulateTypeIT0_Lb1EE4typeES8_NS0_13TensorArgTypeES9_S9_EUllE_EEvNS0_6detail10TensorInfoIT_T1_EESF_NSC_IKS6_SE_EElS8_S8_SE_T6_,comdat
	.protected	_ZN2at4cuda17kernelHistogram1DIfslLi1ELi2ELin1ELNS0_23CUDAHistogramMemoryTypeE0EZNS0_21CUDA_tensor_histogramIfsLb1EEEbNS_6TensorES4_S4_lNS_14AccumulateTypeIT0_Lb1EE4typeES8_NS0_13TensorArgTypeES9_S9_EUllE_EEvNS0_6detail10TensorInfoIT_T1_EESF_NSC_IKS6_SE_EElS8_S8_SE_T6_ ; -- Begin function _ZN2at4cuda17kernelHistogram1DIfslLi1ELi2ELin1ELNS0_23CUDAHistogramMemoryTypeE0EZNS0_21CUDA_tensor_histogramIfsLb1EEEbNS_6TensorES4_S4_lNS_14AccumulateTypeIT0_Lb1EE4typeES8_NS0_13TensorArgTypeES9_S9_EUllE_EEvNS0_6detail10TensorInfoIT_T1_EESF_NSC_IKS6_SE_EElS8_S8_SE_T6_
	.globl	_ZN2at4cuda17kernelHistogram1DIfslLi1ELi2ELin1ELNS0_23CUDAHistogramMemoryTypeE0EZNS0_21CUDA_tensor_histogramIfsLb1EEEbNS_6TensorES4_S4_lNS_14AccumulateTypeIT0_Lb1EE4typeES8_NS0_13TensorArgTypeES9_S9_EUllE_EEvNS0_6detail10TensorInfoIT_T1_EESF_NSC_IKS6_SE_EElS8_S8_SE_T6_
	.p2align	8
	.type	_ZN2at4cuda17kernelHistogram1DIfslLi1ELi2ELin1ELNS0_23CUDAHistogramMemoryTypeE0EZNS0_21CUDA_tensor_histogramIfsLb1EEEbNS_6TensorES4_S4_lNS_14AccumulateTypeIT0_Lb1EE4typeES8_NS0_13TensorArgTypeES9_S9_EUllE_EEvNS0_6detail10TensorInfoIT_T1_EESF_NSC_IKS6_SE_EElS8_S8_SE_T6_,@function
_ZN2at4cuda17kernelHistogram1DIfslLi1ELi2ELin1ELNS0_23CUDAHistogramMemoryTypeE0EZNS0_21CUDA_tensor_histogramIfsLb1EEEbNS_6TensorES4_S4_lNS_14AccumulateTypeIT0_Lb1EE4typeES8_NS0_13TensorArgTypeES9_S9_EUllE_EEvNS0_6detail10TensorInfoIT_T1_EESF_NSC_IKS6_SE_EElS8_S8_SE_T6_: ; @_ZN2at4cuda17kernelHistogram1DIfslLi1ELi2ELin1ELNS0_23CUDAHistogramMemoryTypeE0EZNS0_21CUDA_tensor_histogramIfsLb1EEEbNS_6TensorES4_S4_lNS_14AccumulateTypeIT0_Lb1EE4typeES8_NS0_13TensorArgTypeES9_S9_EUllE_EEvNS0_6detail10TensorInfoIT_T1_EESF_NSC_IKS6_SE_EElS8_S8_SE_T6_
; %bb.0:
	s_load_dwordx4 s[16:19], s[4:5], 0x0
	s_load_dwordx2 s[22:23], s[4:5], 0x500
	s_load_dwordx8 s[8:15], s[4:5], 0x4e0
	v_mov_b32_e32 v1, 0
	s_add_u32 s26, s4, 0x6a0
	s_waitcnt lgkmcnt(0)
	v_cmp_gt_i64_e64 s[0:1], s[18:19], v[0:1]
	v_cmp_le_i64_e32 vcc, s[18:19], v[0:1]
	s_addc_u32 s27, s5, 0
                                        ; implicit-def: $sgpr7
	s_and_saveexec_b64 s[2:3], vcc
	s_xor_b64 s[2:3], exec, s[2:3]
	s_cbranch_execz .LBB48_2
; %bb.1:
	s_load_dword s7, s[26:27], 0xc
.LBB48_2:
	s_or_saveexec_b64 s[28:29], s[2:3]
	s_load_dwordx2 s[20:21], s[4:5], 0xd0
	s_load_dwordx2 s[24:25], s[4:5], 0x5d0
	s_waitcnt lgkmcnt(0)
	v_mov_b32_e32 v4, s7
	s_xor_b64 exec, exec, s[28:29]
	s_cbranch_execz .LBB48_16
; %bb.3:
	s_load_dword s7, s[26:27], 0xc
	v_mov_b32_e32 v2, s19
	s_mov_b32 s34, 0
	s_waitcnt lgkmcnt(0)
	s_and_b32 s33, s7, 0xffff
	v_add_co_u32_e32 v4, vcc, s33, v0
	v_addc_co_u32_e64 v5, s[2:3], 0, 0, vcc
	v_cmp_gt_i64_e32 vcc, s[18:19], v[4:5]
	v_cndmask_b32_e32 v6, v5, v2, vcc
	v_mov_b32_e32 v2, s18
	v_cndmask_b32_e32 v3, v4, v2, vcc
	v_cndmask_b32_e64 v2, 0, 1, vcc
	v_add_co_u32_e32 v4, vcc, v4, v2
	v_addc_co_u32_e32 v5, vcc, 0, v5, vcc
	v_sub_co_u32_e32 v3, vcc, v3, v4
	v_subb_co_u32_e32 v5, vcc, v6, v5, vcc
	v_mov_b32_e32 v4, 0
	v_cmp_ne_u64_e32 vcc, 0, v[4:5]
                                        ; implicit-def: $vgpr6_vgpr7
	s_and_saveexec_b64 s[2:3], vcc
	s_xor_b64 s[30:31], exec, s[2:3]
	s_cbranch_execz .LBB48_5
; %bb.4:
	v_cvt_f32_u32_e32 v4, s33
	v_mov_b32_e32 v6, 0x4f800000
	s_sub_u32 s2, 0, s33
	s_subb_u32 s3, 0, 0
	v_mac_f32_e32 v4, 0, v6
	v_rcp_f32_e32 v4, v4
	v_mul_f32_e32 v4, 0x5f7ffffc, v4
	v_mul_f32_e32 v6, 0x2f800000, v4
	v_trunc_f32_e32 v6, v6
	v_madmk_f32 v4, v6, 0xcf800000, v4
	v_cvt_u32_f32_e32 v6, v6
	v_cvt_u32_f32_e32 v4, v4
	v_mul_lo_u32 v7, s2, v6
	v_mul_hi_u32 v9, s2, v4
	v_mul_lo_u32 v8, s3, v4
	v_add_u32_e32 v7, v9, v7
	v_mul_lo_u32 v10, s2, v4
	v_add_u32_e32 v7, v7, v8
	v_mul_hi_u32 v9, v4, v10
	v_mul_lo_u32 v11, v4, v7
	v_mul_hi_u32 v8, v4, v7
	v_add_co_u32_e32 v9, vcc, v9, v11
	v_addc_co_u32_e32 v8, vcc, 0, v8, vcc
	v_mul_hi_u32 v12, v6, v10
	v_mul_lo_u32 v10, v6, v10
	v_add_co_u32_e32 v9, vcc, v9, v10
	v_mul_hi_u32 v11, v6, v7
	v_addc_co_u32_e32 v8, vcc, v8, v12, vcc
	v_addc_co_u32_e32 v9, vcc, 0, v11, vcc
	v_mul_lo_u32 v7, v6, v7
	v_add_co_u32_e32 v7, vcc, v8, v7
	v_addc_co_u32_e32 v8, vcc, 0, v9, vcc
	v_add_co_u32_e32 v4, vcc, v4, v7
	v_addc_co_u32_e32 v6, vcc, v6, v8, vcc
	v_mul_lo_u32 v7, s2, v6
	v_mul_hi_u32 v8, s2, v4
	v_add_u32_e32 v7, v8, v7
	v_mul_lo_u32 v8, s3, v4
	v_add_u32_e32 v7, v7, v8
	v_mul_lo_u32 v9, s2, v4
	v_mul_hi_u32 v10, v6, v9
	v_mul_lo_u32 v11, v6, v9
	v_mul_lo_u32 v13, v4, v7
	v_mul_hi_u32 v9, v4, v9
	v_mul_hi_u32 v12, v4, v7
	v_add_co_u32_e32 v9, vcc, v9, v13
	v_addc_co_u32_e32 v12, vcc, 0, v12, vcc
	v_add_co_u32_e32 v9, vcc, v9, v11
	v_mul_hi_u32 v8, v6, v7
	v_addc_co_u32_e32 v9, vcc, v12, v10, vcc
	v_addc_co_u32_e32 v8, vcc, 0, v8, vcc
	v_mul_lo_u32 v7, v6, v7
	v_add_co_u32_e32 v7, vcc, v9, v7
	v_addc_co_u32_e32 v8, vcc, 0, v8, vcc
	v_add_co_u32_e32 v4, vcc, v4, v7
	v_addc_co_u32_e32 v8, vcc, v6, v8, vcc
	v_mad_u64_u32 v[6:7], s[2:3], v3, v8, 0
	v_mul_hi_u32 v9, v3, v4
	v_add_co_u32_e32 v10, vcc, v9, v6
	v_addc_co_u32_e32 v11, vcc, 0, v7, vcc
	v_mad_u64_u32 v[6:7], s[2:3], v5, v8, 0
	v_mad_u64_u32 v[8:9], s[2:3], v5, v4, 0
	v_add_co_u32_e32 v4, vcc, v10, v8
	v_addc_co_u32_e32 v4, vcc, v11, v9, vcc
	v_addc_co_u32_e32 v7, vcc, 0, v7, vcc
	v_add_co_u32_e32 v10, vcc, v4, v6
	v_addc_co_u32_e32 v11, vcc, 0, v7, vcc
	v_mad_u64_u32 v[6:7], s[2:3], s33, v10, 0
	v_mov_b32_e32 v4, v7
	v_mad_u64_u32 v[8:9], s[2:3], s33, v11, v[4:5]
	v_sub_co_u32_e32 v3, vcc, v3, v6
	v_subb_co_u32_e32 v4, vcc, v5, v8, vcc
	v_subrev_co_u32_e32 v5, vcc, s33, v3
	v_subbrev_co_u32_e32 v6, vcc, 0, v4, vcc
	v_cmp_le_u32_e32 vcc, s33, v5
	v_cndmask_b32_e64 v5, 0, -1, vcc
	v_cmp_eq_u32_e32 vcc, 0, v6
	v_cndmask_b32_e32 v5, -1, v5, vcc
	v_add_co_u32_e32 v6, vcc, 2, v10
	v_addc_co_u32_e32 v7, vcc, 0, v11, vcc
	v_add_co_u32_e32 v8, vcc, 1, v10
	v_cmp_le_u32_e64 s[2:3], s33, v3
	v_addc_co_u32_e32 v9, vcc, 0, v11, vcc
	v_cndmask_b32_e64 v3, 0, -1, s[2:3]
	v_cmp_eq_u32_e64 s[2:3], 0, v4
	v_cmp_ne_u32_e32 vcc, 0, v5
	v_cndmask_b32_e64 v3, -1, v3, s[2:3]
	v_cndmask_b32_e32 v5, v9, v7, vcc
	v_cmp_ne_u32_e64 s[2:3], 0, v3
	v_cndmask_b32_e32 v3, v8, v6, vcc
	v_cndmask_b32_e64 v7, v11, v5, s[2:3]
	v_cndmask_b32_e64 v6, v10, v3, s[2:3]
                                        ; implicit-def: $vgpr3
.LBB48_5:
	s_andn2_saveexec_b64 s[2:3], s[30:31]
	s_cbranch_execz .LBB48_7
; %bb.6:
	v_cvt_f32_u32_e32 v4, s33
	s_sub_i32 s30, 0, s33
	v_mov_b32_e32 v7, 0
	v_rcp_iflag_f32_e32 v4, v4
	v_mul_f32_e32 v4, 0x4f7ffffe, v4
	v_cvt_u32_f32_e32 v4, v4
	v_mul_lo_u32 v5, s30, v4
	v_mul_hi_u32 v5, v4, v5
	v_add_u32_e32 v4, v4, v5
	v_mul_hi_u32 v4, v3, v4
	v_mul_lo_u32 v5, v4, s33
	v_sub_u32_e32 v3, v3, v5
	v_add_u32_e32 v6, 1, v4
	v_subrev_u32_e32 v5, s33, v3
	v_cmp_le_u32_e32 vcc, s33, v3
	v_cndmask_b32_e32 v3, v3, v5, vcc
	v_cndmask_b32_e32 v4, v4, v6, vcc
	v_add_u32_e32 v5, 1, v4
	v_cmp_le_u32_e32 vcc, s33, v3
	v_cndmask_b32_e32 v6, v4, v5, vcc
.LBB48_7:
	s_or_b64 exec, exec, s[2:3]
	v_add_co_u32_e32 v2, vcc, v6, v2
	v_addc_co_u32_e32 v3, vcc, 0, v7, vcc
	v_add_co_u32_e32 v4, vcc, 1, v2
	v_addc_co_u32_e32 v5, vcc, 0, v3, vcc
	v_cmp_lt_u64_e32 vcc, 1, v[4:5]
	v_cmp_eq_u16_e64 s[2:3], s7, 1
	s_and_b64 s[36:37], vcc, s[2:3]
	s_mov_b64 s[30:31], -1
	v_pk_mov_b32 v[2:3], v[0:1], v[0:1] op_sel:[0,1]
                                        ; implicit-def: $sgpr35
	s_and_saveexec_b64 s[2:3], s[36:37]
	s_cbranch_execz .LBB48_11
; %bb.8:
	v_and_b32_e32 v6, -2, v4
	v_mov_b32_e32 v7, v5
	v_lshl_add_u32 v8, v0, 2, 0
	s_mov_b64 s[30:31], 0
	v_mov_b32_e32 v9, 0
	v_pk_mov_b32 v[2:3], v[6:7], v[6:7] op_sel:[0,1]
.LBB48_9:                               ; =>This Inner Loop Header: Depth=1
	v_add_co_u32_e32 v2, vcc, -2, v2
	v_addc_co_u32_e32 v3, vcc, -1, v3, vcc
	v_cmp_eq_u64_e32 vcc, 0, v[2:3]
	ds_write2_b32 v8, v9, v9 offset1:1
	s_or_b64 s[30:31], vcc, s[30:31]
	v_add_u32_e32 v8, 8, v8
	s_andn2_b64 exec, exec, s[30:31]
	s_cbranch_execnz .LBB48_9
; %bb.10:
	s_or_b64 exec, exec, s[30:31]
	v_mad_u64_u32 v[2:3], s[30:31], v6, s33, v[0:1]
	v_mov_b32_e32 v8, v3
	v_mad_u64_u32 v[8:9], s[30:31], v7, s33, v[8:9]
	v_cmp_ne_u64_e32 vcc, v[4:5], v[6:7]
	v_mov_b32_e32 v3, v8
	s_mov_b32 s35, 1
	s_orn2_b64 s[30:31], vcc, exec
.LBB48_11:
	s_or_b64 exec, exec, s[2:3]
	v_mov_b32_e32 v4, s35
	s_and_saveexec_b64 s[2:3], s[30:31]
	s_cbranch_execz .LBB48_15
; %bb.12:
	v_lshl_add_u32 v4, v2, 2, 0
	s_lshl_b32 s35, s33, 2
	s_mov_b64 s[30:31], 0
	v_mov_b32_e32 v5, 0
	v_mov_b32_e32 v6, s34
.LBB48_13:                              ; =>This Inner Loop Header: Depth=1
	v_add_co_u32_e32 v2, vcc, s33, v2
	v_addc_co_u32_e32 v3, vcc, v3, v6, vcc
	v_cmp_le_i64_e32 vcc, s[18:19], v[2:3]
	ds_write_b32 v4, v5
	s_or_b64 s[30:31], vcc, s[30:31]
	v_add_u32_e32 v4, s35, v4
	s_andn2_b64 exec, exec, s[30:31]
	s_cbranch_execnz .LBB48_13
; %bb.14:
	s_or_b64 exec, exec, s[30:31]
	v_mov_b32_e32 v4, s7
.LBB48_15:
	s_or_b64 exec, exec, s[2:3]
.LBB48_16:
	s_or_b64 exec, exec, s[28:29]
	v_and_b32_e32 v2, 0xffff, v4
	v_mad_u64_u32 v[4:5], s[2:3], s6, v2, v[0:1]
	v_mov_b32_e32 v6, 0
	v_mov_b32_e32 v5, v6
	v_cmp_gt_i64_e32 vcc, s[14:15], v[4:5]
	s_waitcnt lgkmcnt(0)
	s_barrier
	s_waitcnt lgkmcnt(0)
                                        ; kill: def $vgpr3 killed $sgpr0 killed $exec
	s_and_saveexec_b64 s[6:7], vcc
	s_cbranch_execz .LBB48_32
; %bb.17:
	s_load_dword s30, s[4:5], 0x4d8
	s_add_u32 s31, s4, 0x340
	s_addc_u32 s35, s5, 0
	s_load_dword s34, s[26:27], 0x0
	s_load_dwordx2 s[28:29], s[4:5], 0x340
	s_waitcnt lgkmcnt(0)
	v_mul_lo_u32 v8, s34, v2
	s_load_dwordx2 s[26:27], s[4:5], 0x410
	s_cmp_gt_i32 s30, 1
	s_cselect_b64 s[2:3], -1, 0
	s_sub_u32 s33, s12, s10
	s_subb_u32 s46, s13, s11
	s_mov_b32 s5, 0
	s_add_i32 s4, s30, -1
	s_add_i32 s47, s30, 1
	s_lshl_b64 s[4:5], s[4:5], 3
	s_add_u32 s4, s4, s31
	s_addc_u32 s5, s5, s35
	s_add_u32 s30, s4, 8
	v_cndmask_b32_e64 v3, 0, 1, s[2:3]
	s_addc_u32 s31, s5, 0
	s_mov_b64 s[34:35], 0
	v_cmp_ne_u32_e64 s[2:3], 1, v3
	s_branch .LBB48_20
.LBB48_18:                              ;   in Loop: Header=BB48_20 Depth=1
	s_or_b64 exec, exec, s[4:5]
	v_mul_lo_u32 v3, v5, s24
	v_mul_lo_u32 v7, v4, s25
	v_mad_u64_u32 v[10:11], s[4:5], v4, s24, 0
	v_add3_u32 v11, v11, v7, v3
	v_lshlrev_b64 v[10:11], 2, v[10:11]
	v_mov_b32_e32 v3, s23
	v_add_co_u32_e32 v10, vcc, s22, v10
	v_addc_co_u32_e32 v11, vcc, v3, v11, vcc
	global_load_dword v3, v[10:11], off
	v_ashrrev_i32_e32 v13, 31, v12
	v_cmp_eq_u64_e32 vcc, s[8:9], v[12:13]
	v_subbrev_co_u32_e32 v7, vcc, 0, v12, vcc
	v_lshl_add_u32 v7, v7, 2, 0
	s_waitcnt vmcnt(0)
	ds_add_f32 v7, v3
	s_waitcnt lgkmcnt(0)
.LBB48_19:                              ;   in Loop: Header=BB48_20 Depth=1
	s_or_b64 exec, exec, s[36:37]
	v_add_co_u32_e32 v4, vcc, v4, v8
	v_addc_co_u32_e32 v5, vcc, 0, v5, vcc
	v_cmp_le_i64_e32 vcc, s[14:15], v[4:5]
	s_or_b64 s[34:35], vcc, s[34:35]
	s_andn2_b64 exec, exec, s[34:35]
	s_cbranch_execz .LBB48_32
.LBB48_20:                              ; =>This Loop Header: Depth=1
                                        ;     Child Loop BB48_21 Depth 2
	s_and_b64 vcc, exec, s[2:3]
	v_pk_mov_b32 v[10:11], 0, 0
	s_mov_b64 s[36:37], s[30:31]
	s_mov_b32 s48, s47
	v_pk_mov_b32 v[12:13], v[4:5], v[4:5] op_sel:[0,1]
	v_pk_mov_b32 v[14:15], v[4:5], v[4:5] op_sel:[0,1]
	s_cbranch_vccnz .LBB48_27
.LBB48_21:                              ;   Parent Loop BB48_20 Depth=1
                                        ; =>  This Inner Loop Header: Depth=2
	s_load_dwordx2 s[38:39], s[36:37], 0x0
                                        ; implicit-def: $vgpr14_vgpr15
	s_waitcnt lgkmcnt(0)
	v_or_b32_e32 v7, s39, v13
	v_cmp_ne_u64_e32 vcc, 0, v[6:7]
	s_and_saveexec_b64 s[4:5], vcc
	s_xor_b64 s[40:41], exec, s[4:5]
	s_cbranch_execz .LBB48_23
; %bb.22:                               ;   in Loop: Header=BB48_21 Depth=2
	s_ashr_i32 s42, s39, 31
	s_add_u32 s4, s38, s42
	s_mov_b32 s43, s42
	s_addc_u32 s5, s39, s42
	s_xor_b64 s[44:45], s[4:5], s[42:43]
	v_cvt_f32_u32_e32 v3, s44
	v_cvt_f32_u32_e32 v7, s45
	s_sub_u32 s4, 0, s44
	s_subb_u32 s5, 0, s45
	v_mac_f32_e32 v3, 0x4f800000, v7
	v_rcp_f32_e32 v3, v3
	v_mul_f32_e32 v3, 0x5f7ffffc, v3
	v_mul_f32_e32 v7, 0x2f800000, v3
	v_trunc_f32_e32 v7, v7
	v_mac_f32_e32 v3, 0xcf800000, v7
	v_cvt_u32_f32_e32 v7, v7
	v_cvt_u32_f32_e32 v3, v3
	v_mul_lo_u32 v9, s4, v7
	v_mul_hi_u32 v15, s4, v3
	v_mul_lo_u32 v14, s5, v3
	v_add_u32_e32 v9, v15, v9
	v_mul_lo_u32 v16, s4, v3
	v_add_u32_e32 v9, v9, v14
	v_mul_lo_u32 v15, v3, v9
	v_mul_hi_u32 v17, v3, v16
	v_mul_hi_u32 v14, v3, v9
	v_add_co_u32_e32 v15, vcc, v17, v15
	v_addc_co_u32_e32 v14, vcc, 0, v14, vcc
	v_mul_hi_u32 v18, v7, v16
	v_mul_lo_u32 v16, v7, v16
	v_add_co_u32_e32 v15, vcc, v15, v16
	v_mul_hi_u32 v17, v7, v9
	v_addc_co_u32_e32 v14, vcc, v14, v18, vcc
	v_addc_co_u32_e32 v15, vcc, 0, v17, vcc
	v_mul_lo_u32 v9, v7, v9
	v_add_co_u32_e32 v9, vcc, v14, v9
	v_addc_co_u32_e32 v14, vcc, 0, v15, vcc
	v_add_co_u32_e32 v3, vcc, v3, v9
	v_addc_co_u32_e32 v7, vcc, v7, v14, vcc
	v_mul_lo_u32 v9, s4, v7
	v_mul_hi_u32 v14, s4, v3
	v_add_u32_e32 v9, v14, v9
	v_mul_lo_u32 v14, s5, v3
	v_add_u32_e32 v9, v9, v14
	v_mul_lo_u32 v15, s4, v3
	v_mul_hi_u32 v16, v7, v15
	v_mul_lo_u32 v17, v7, v15
	v_mul_lo_u32 v19, v3, v9
	v_mul_hi_u32 v15, v3, v15
	v_mul_hi_u32 v18, v3, v9
	v_add_co_u32_e32 v15, vcc, v15, v19
	v_addc_co_u32_e32 v18, vcc, 0, v18, vcc
	v_add_co_u32_e32 v15, vcc, v15, v17
	v_mul_hi_u32 v14, v7, v9
	v_addc_co_u32_e32 v15, vcc, v18, v16, vcc
	v_addc_co_u32_e32 v14, vcc, 0, v14, vcc
	v_mul_lo_u32 v9, v7, v9
	v_add_co_u32_e32 v9, vcc, v15, v9
	v_addc_co_u32_e32 v14, vcc, 0, v14, vcc
	v_add_co_u32_e32 v3, vcc, v3, v9
	v_addc_co_u32_e32 v7, vcc, v7, v14, vcc
	v_ashrrev_i32_e32 v9, 31, v13
	v_add_co_u32_e32 v14, vcc, v12, v9
	v_addc_co_u32_e32 v15, vcc, v13, v9, vcc
	v_xor_b32_e32 v19, v14, v9
	v_xor_b32_e32 v18, v15, v9
	v_mad_u64_u32 v[14:15], s[4:5], v19, v7, 0
	v_mul_hi_u32 v16, v19, v3
	v_add_co_u32_e32 v20, vcc, v16, v14
	v_addc_co_u32_e32 v21, vcc, 0, v15, vcc
	v_mad_u64_u32 v[16:17], s[4:5], v18, v3, 0
	v_add_co_u32_e32 v3, vcc, v20, v16
	v_mad_u64_u32 v[14:15], s[4:5], v18, v7, 0
	v_addc_co_u32_e32 v3, vcc, v21, v17, vcc
	v_addc_co_u32_e32 v7, vcc, 0, v15, vcc
	v_add_co_u32_e32 v3, vcc, v3, v14
	v_addc_co_u32_e32 v7, vcc, 0, v7, vcc
	v_mul_lo_u32 v16, s45, v3
	v_mul_lo_u32 v17, s44, v7
	v_mad_u64_u32 v[14:15], s[4:5], s44, v3, 0
	v_add3_u32 v15, v15, v17, v16
	v_sub_u32_e32 v16, v18, v15
	v_mov_b32_e32 v17, s45
	v_sub_co_u32_e32 v14, vcc, v19, v14
	v_subb_co_u32_e64 v16, s[4:5], v16, v17, vcc
	v_subrev_co_u32_e64 v17, s[4:5], s44, v14
	v_subbrev_co_u32_e64 v16, s[4:5], 0, v16, s[4:5]
	v_cmp_le_u32_e64 s[4:5], s45, v16
	v_cndmask_b32_e64 v19, 0, -1, s[4:5]
	v_cmp_le_u32_e64 s[4:5], s44, v17
	v_cndmask_b32_e64 v17, 0, -1, s[4:5]
	v_cmp_eq_u32_e64 s[4:5], s45, v16
	v_cndmask_b32_e64 v16, v19, v17, s[4:5]
	v_add_co_u32_e64 v17, s[4:5], 2, v3
	v_subb_co_u32_e32 v15, vcc, v18, v15, vcc
	v_addc_co_u32_e64 v19, s[4:5], 0, v7, s[4:5]
	v_cmp_le_u32_e32 vcc, s45, v15
	v_add_co_u32_e64 v20, s[4:5], 1, v3
	v_cndmask_b32_e64 v18, 0, -1, vcc
	v_cmp_le_u32_e32 vcc, s44, v14
	v_addc_co_u32_e64 v21, s[4:5], 0, v7, s[4:5]
	v_cndmask_b32_e64 v14, 0, -1, vcc
	v_cmp_eq_u32_e32 vcc, s45, v15
	v_cmp_ne_u32_e64 s[4:5], 0, v16
	v_cndmask_b32_e32 v14, v18, v14, vcc
	v_cmp_ne_u32_e32 vcc, 0, v14
	v_cndmask_b32_e64 v14, v20, v17, s[4:5]
	v_cndmask_b32_e64 v16, v21, v19, s[4:5]
	v_cndmask_b32_e32 v3, v3, v14, vcc
	v_xor_b32_e32 v9, s42, v9
	v_cndmask_b32_e32 v7, v7, v16, vcc
	v_xor_b32_e32 v3, v3, v9
	v_xor_b32_e32 v7, v7, v9
	v_sub_co_u32_e32 v14, vcc, v3, v9
	v_subb_co_u32_e32 v15, vcc, v7, v9, vcc
.LBB48_23:                              ;   in Loop: Header=BB48_21 Depth=2
	s_andn2_saveexec_b64 s[4:5], s[40:41]
	s_cbranch_execz .LBB48_25
; %bb.24:                               ;   in Loop: Header=BB48_21 Depth=2
	v_cvt_f32_u32_e32 v3, s38
	s_sub_i32 s40, 0, s38
	v_mov_b32_e32 v15, v6
	v_rcp_iflag_f32_e32 v3, v3
	v_mul_f32_e32 v3, 0x4f7ffffe, v3
	v_cvt_u32_f32_e32 v3, v3
	v_mul_lo_u32 v7, s40, v3
	v_mul_hi_u32 v7, v3, v7
	v_add_u32_e32 v3, v3, v7
	v_mul_hi_u32 v3, v12, v3
	v_mul_lo_u32 v7, v3, s38
	v_sub_u32_e32 v7, v12, v7
	v_add_u32_e32 v9, 1, v3
	v_subrev_u32_e32 v14, s38, v7
	v_cmp_le_u32_e32 vcc, s38, v7
	v_cndmask_b32_e32 v7, v7, v14, vcc
	v_cndmask_b32_e32 v3, v3, v9, vcc
	v_add_u32_e32 v9, 1, v3
	v_cmp_le_u32_e32 vcc, s38, v7
	v_cndmask_b32_e32 v14, v3, v9, vcc
.LBB48_25:                              ;   in Loop: Header=BB48_21 Depth=2
	s_or_b64 exec, exec, s[4:5]
	v_mad_u64_u32 v[16:17], s[4:5], v14, s38, 0
	s_load_dwordx2 s[4:5], s[36:37], 0xc8
	v_mul_lo_u32 v3, v15, s38
	v_mul_lo_u32 v7, v14, s39
	v_add3_u32 v3, v17, v7, v3
	v_sub_co_u32_e32 v7, vcc, v12, v16
	s_add_i32 s48, s48, -1
	v_subb_co_u32_e32 v3, vcc, v13, v3, vcc
	s_add_u32 s36, s36, -8
	s_waitcnt lgkmcnt(0)
	v_mul_lo_u32 v3, s4, v3
	v_mul_lo_u32 v9, s5, v7
	v_mad_u64_u32 v[10:11], s[4:5], s4, v7, v[10:11]
	s_addc_u32 s37, s37, -1
	s_cmp_gt_u32 s48, 2
	v_add3_u32 v11, v9, v11, v3
	s_cbranch_scc0 .LBB48_27
; %bb.26:                               ;   in Loop: Header=BB48_21 Depth=2
	v_pk_mov_b32 v[12:13], v[14:15], v[14:15] op_sel:[0,1]
	s_branch .LBB48_21
.LBB48_27:                              ;   in Loop: Header=BB48_20 Depth=1
	s_waitcnt lgkmcnt(0)
	v_mul_lo_u32 v3, s27, v14
	v_mul_lo_u32 v7, s26, v15
	v_mad_u64_u32 v[12:13], s[4:5], s26, v14, 0
	v_add3_u32 v13, v13, v7, v3
	v_lshlrev_b64 v[12:13], 1, v[12:13]
	v_mov_b32_e32 v3, s29
	v_add_co_u32_e32 v7, vcc, s28, v12
	v_addc_co_u32_e32 v3, vcc, v3, v13, vcc
	v_lshlrev_b64 v[10:11], 1, v[10:11]
	v_add_co_u32_e32 v10, vcc, v7, v10
	v_addc_co_u32_e32 v11, vcc, v3, v11, vcc
	global_load_ushort v3, v[10:11], off
	s_waitcnt vmcnt(0)
	v_bfe_i32 v10, v3, 0, 16
	v_ashrrev_i32_e32 v11, 31, v10
	v_cmp_le_i64_e32 vcc, s[10:11], v[10:11]
	v_cmp_ge_i64_e64 s[4:5], s[12:13], v[10:11]
	s_and_b64 s[4:5], vcc, s[4:5]
	s_and_saveexec_b64 s[36:37], s[4:5]
	s_cbranch_execz .LBB48_19
; %bb.28:                               ;   in Loop: Header=BB48_20 Depth=1
	v_mov_b32_e32 v3, s11
	v_subrev_co_u32_e32 v7, vcc, s10, v10
	v_subb_co_u32_e32 v3, vcc, v11, v3, vcc
	v_mul_lo_u32 v3, v3, s8
	v_mul_lo_u32 v9, v7, s9
	v_mad_u64_u32 v[10:11], s[4:5], v7, s8, 0
	v_add3_u32 v11, v11, v9, v3
	v_or_b32_e32 v7, s46, v11
	v_cmp_ne_u64_e32 vcc, 0, v[6:7]
                                        ; implicit-def: $vgpr12_vgpr13
	s_and_saveexec_b64 s[4:5], vcc
	s_xor_b64 s[38:39], exec, s[4:5]
	s_cbranch_execz .LBB48_30
; %bb.29:                               ;   in Loop: Header=BB48_20 Depth=1
	s_ashr_i32 s40, s46, 31
	s_add_u32 s4, s33, s40
	s_mov_b32 s41, s40
	s_addc_u32 s5, s46, s40
	s_xor_b64 s[42:43], s[4:5], s[40:41]
	v_cvt_f32_u32_e32 v3, s42
	v_cvt_f32_u32_e32 v7, s43
	s_sub_u32 s4, 0, s42
	s_subb_u32 s5, 0, s43
	v_mac_f32_e32 v3, 0x4f800000, v7
	v_rcp_f32_e32 v3, v3
	v_mul_f32_e32 v3, 0x5f7ffffc, v3
	v_mul_f32_e32 v7, 0x2f800000, v3
	v_trunc_f32_e32 v7, v7
	v_mac_f32_e32 v3, 0xcf800000, v7
	v_cvt_u32_f32_e32 v7, v7
	v_cvt_u32_f32_e32 v3, v3
	v_mul_lo_u32 v9, s4, v7
	v_mul_hi_u32 v13, s4, v3
	v_mul_lo_u32 v12, s5, v3
	v_add_u32_e32 v9, v13, v9
	v_mul_lo_u32 v14, s4, v3
	v_add_u32_e32 v9, v9, v12
	v_mul_lo_u32 v13, v3, v9
	v_mul_hi_u32 v15, v3, v14
	v_mul_hi_u32 v12, v3, v9
	v_add_co_u32_e32 v13, vcc, v15, v13
	v_addc_co_u32_e32 v12, vcc, 0, v12, vcc
	v_mul_hi_u32 v16, v7, v14
	v_mul_lo_u32 v14, v7, v14
	v_add_co_u32_e32 v13, vcc, v13, v14
	v_mul_hi_u32 v15, v7, v9
	v_addc_co_u32_e32 v12, vcc, v12, v16, vcc
	v_addc_co_u32_e32 v13, vcc, 0, v15, vcc
	v_mul_lo_u32 v9, v7, v9
	v_add_co_u32_e32 v9, vcc, v12, v9
	v_addc_co_u32_e32 v12, vcc, 0, v13, vcc
	v_add_co_u32_e32 v3, vcc, v3, v9
	v_addc_co_u32_e32 v7, vcc, v7, v12, vcc
	v_mul_lo_u32 v9, s4, v7
	v_mul_hi_u32 v12, s4, v3
	v_add_u32_e32 v9, v12, v9
	v_mul_lo_u32 v12, s5, v3
	v_add_u32_e32 v9, v9, v12
	v_mul_lo_u32 v13, s4, v3
	v_mul_hi_u32 v14, v7, v13
	v_mul_lo_u32 v15, v7, v13
	v_mul_lo_u32 v17, v3, v9
	v_mul_hi_u32 v13, v3, v13
	v_mul_hi_u32 v16, v3, v9
	v_add_co_u32_e32 v13, vcc, v13, v17
	v_addc_co_u32_e32 v16, vcc, 0, v16, vcc
	v_add_co_u32_e32 v13, vcc, v13, v15
	v_mul_hi_u32 v12, v7, v9
	v_addc_co_u32_e32 v13, vcc, v16, v14, vcc
	v_addc_co_u32_e32 v12, vcc, 0, v12, vcc
	v_mul_lo_u32 v9, v7, v9
	v_add_co_u32_e32 v9, vcc, v13, v9
	v_addc_co_u32_e32 v12, vcc, 0, v12, vcc
	v_add_co_u32_e32 v3, vcc, v3, v9
	v_addc_co_u32_e32 v7, vcc, v7, v12, vcc
	v_ashrrev_i32_e32 v9, 31, v11
	v_add_co_u32_e32 v10, vcc, v10, v9
	v_addc_co_u32_e32 v11, vcc, v11, v9, vcc
	v_xor_b32_e32 v15, v10, v9
	v_xor_b32_e32 v14, v11, v9
	v_mad_u64_u32 v[10:11], s[4:5], v15, v7, 0
	v_mul_hi_u32 v12, v15, v3
	v_add_co_u32_e32 v16, vcc, v12, v10
	v_addc_co_u32_e32 v17, vcc, 0, v11, vcc
	v_mad_u64_u32 v[12:13], s[4:5], v14, v3, 0
	v_add_co_u32_e32 v3, vcc, v16, v12
	v_mad_u64_u32 v[10:11], s[4:5], v14, v7, 0
	v_addc_co_u32_e32 v3, vcc, v17, v13, vcc
	v_addc_co_u32_e32 v7, vcc, 0, v11, vcc
	v_add_co_u32_e32 v3, vcc, v3, v10
	v_addc_co_u32_e32 v7, vcc, 0, v7, vcc
	v_mul_lo_u32 v12, s43, v3
	v_mul_lo_u32 v7, s42, v7
	v_mad_u64_u32 v[10:11], s[4:5], s42, v3, 0
	v_add3_u32 v7, v11, v7, v12
	v_sub_u32_e32 v11, v14, v7
	v_mov_b32_e32 v12, s43
	v_sub_co_u32_e32 v10, vcc, v15, v10
	v_subb_co_u32_e64 v11, s[4:5], v11, v12, vcc
	v_subrev_co_u32_e64 v12, s[4:5], s42, v10
	v_subbrev_co_u32_e64 v11, s[4:5], 0, v11, s[4:5]
	v_cmp_le_u32_e64 s[4:5], s43, v11
	v_subb_co_u32_e32 v7, vcc, v14, v7, vcc
	v_cndmask_b32_e64 v13, 0, -1, s[4:5]
	v_cmp_le_u32_e64 s[4:5], s42, v12
	v_cmp_le_u32_e32 vcc, s43, v7
	v_cndmask_b32_e64 v12, 0, -1, s[4:5]
	v_cmp_eq_u32_e64 s[4:5], s43, v11
	v_cndmask_b32_e64 v14, 0, -1, vcc
	v_cmp_le_u32_e32 vcc, s42, v10
	v_cndmask_b32_e64 v11, v13, v12, s[4:5]
	v_cndmask_b32_e64 v10, 0, -1, vcc
	v_cmp_eq_u32_e32 vcc, s43, v7
	v_add_co_u32_e64 v12, s[4:5], 2, v3
	v_add_co_u32_e64 v13, s[4:5], 1, v3
	v_cndmask_b32_e32 v7, v14, v10, vcc
	v_cmp_ne_u32_e32 vcc, 0, v11
	v_cndmask_b32_e32 v10, v13, v12, vcc
	v_cmp_ne_u32_e32 vcc, 0, v7
	v_cndmask_b32_e32 v3, v3, v10, vcc
	v_xor_b32_e32 v7, s40, v9
	v_xor_b32_e32 v3, v3, v7
	v_sub_co_u32_e32 v12, vcc, v3, v7
                                        ; implicit-def: $vgpr10_vgpr11
.LBB48_30:                              ;   in Loop: Header=BB48_20 Depth=1
	s_andn2_saveexec_b64 s[4:5], s[38:39]
	s_cbranch_execz .LBB48_18
; %bb.31:                               ;   in Loop: Header=BB48_20 Depth=1
	v_cvt_f32_u32_e32 v3, s33
	s_sub_i32 s38, 0, s33
	v_rcp_iflag_f32_e32 v3, v3
	v_mul_f32_e32 v3, 0x4f7ffffe, v3
	v_cvt_u32_f32_e32 v3, v3
	v_mul_lo_u32 v7, s38, v3
	v_mul_hi_u32 v7, v3, v7
	v_add_u32_e32 v3, v3, v7
	v_mul_hi_u32 v3, v10, v3
	v_mul_lo_u32 v7, v3, s33
	v_sub_u32_e32 v7, v10, v7
	v_add_u32_e32 v9, 1, v3
	v_subrev_u32_e32 v10, s33, v7
	v_cmp_le_u32_e32 vcc, s33, v7
	v_cndmask_b32_e32 v7, v7, v10, vcc
	v_cndmask_b32_e32 v3, v3, v9, vcc
	v_add_u32_e32 v9, 1, v3
	v_cmp_le_u32_e32 vcc, s33, v7
	v_cndmask_b32_e32 v12, v3, v9, vcc
	s_branch .LBB48_18
.LBB48_32:
	s_or_b64 exec, exec, s[6:7]
; %bb.33:
	s_barrier
	s_and_saveexec_b64 s[2:3], s[0:1]
	s_cbranch_execz .LBB48_36
; %bb.34:
	v_mad_u64_u32 v[4:5], s[0:1], s20, v0, 0
	v_mov_b32_e32 v6, v5
	v_mad_u64_u32 v[6:7], s[0:1], s21, v0, v[6:7]
	v_mov_b32_e32 v5, v6
	;; [unrolled: 2-line block ×3, first 2 shown]
	v_lshlrev_b64 v[4:5], 2, v[4:5]
	v_mad_u64_u32 v[8:9], s[0:1], s21, v2, v[8:9]
	v_mov_b32_e32 v3, s17
	v_add_co_u32_e32 v4, vcc, s16, v4
	v_mov_b32_e32 v7, v8
	v_addc_co_u32_e32 v5, vcc, v3, v5, vcc
	v_lshlrev_b64 v[6:7], 2, v[6:7]
	v_lshl_add_u32 v3, v0, 2, 0
	v_lshlrev_b32_e32 v8, 2, v2
	s_mov_b64 s[0:1], 0
.LBB48_35:                              ; =>This Inner Loop Header: Depth=1
	ds_read_b32 v9, v3
	v_add_co_u32_e32 v0, vcc, v0, v2
	v_addc_co_u32_e32 v1, vcc, 0, v1, vcc
	s_waitcnt lgkmcnt(0)
	global_atomic_add_f32 v[4:5], v9, off
	v_cmp_le_i64_e32 vcc, s[18:19], v[0:1]
	s_or_b64 s[0:1], vcc, s[0:1]
	v_add_co_u32_e32 v4, vcc, v4, v6
	v_add_u32_e32 v3, v3, v8
	v_addc_co_u32_e32 v5, vcc, v5, v7, vcc
	s_andn2_b64 exec, exec, s[0:1]
	s_cbranch_execnz .LBB48_35
.LBB48_36:
	s_endpgm
	.section	.rodata,"a",@progbits
	.p2align	6, 0x0
	.amdhsa_kernel _ZN2at4cuda17kernelHistogram1DIfslLi1ELi2ELin1ELNS0_23CUDAHistogramMemoryTypeE0EZNS0_21CUDA_tensor_histogramIfsLb1EEEbNS_6TensorES4_S4_lNS_14AccumulateTypeIT0_Lb1EE4typeES8_NS0_13TensorArgTypeES9_S9_EUllE_EEvNS0_6detail10TensorInfoIT_T1_EESF_NSC_IKS6_SE_EElS8_S8_SE_T6_
		.amdhsa_group_segment_fixed_size 0
		.amdhsa_private_segment_fixed_size 0
		.amdhsa_kernarg_size 1952
		.amdhsa_user_sgpr_count 6
		.amdhsa_user_sgpr_private_segment_buffer 1
		.amdhsa_user_sgpr_dispatch_ptr 0
		.amdhsa_user_sgpr_queue_ptr 0
		.amdhsa_user_sgpr_kernarg_segment_ptr 1
		.amdhsa_user_sgpr_dispatch_id 0
		.amdhsa_user_sgpr_flat_scratch_init 0
		.amdhsa_user_sgpr_kernarg_preload_length 0
		.amdhsa_user_sgpr_kernarg_preload_offset 0
		.amdhsa_user_sgpr_private_segment_size 0
		.amdhsa_uses_dynamic_stack 0
		.amdhsa_system_sgpr_private_segment_wavefront_offset 0
		.amdhsa_system_sgpr_workgroup_id_x 1
		.amdhsa_system_sgpr_workgroup_id_y 0
		.amdhsa_system_sgpr_workgroup_id_z 0
		.amdhsa_system_sgpr_workgroup_info 0
		.amdhsa_system_vgpr_workitem_id 0
		.amdhsa_next_free_vgpr 22
		.amdhsa_next_free_sgpr 49
		.amdhsa_accum_offset 24
		.amdhsa_reserve_vcc 1
		.amdhsa_reserve_flat_scratch 0
		.amdhsa_float_round_mode_32 0
		.amdhsa_float_round_mode_16_64 0
		.amdhsa_float_denorm_mode_32 3
		.amdhsa_float_denorm_mode_16_64 3
		.amdhsa_dx10_clamp 1
		.amdhsa_ieee_mode 1
		.amdhsa_fp16_overflow 0
		.amdhsa_tg_split 0
		.amdhsa_exception_fp_ieee_invalid_op 0
		.amdhsa_exception_fp_denorm_src 0
		.amdhsa_exception_fp_ieee_div_zero 0
		.amdhsa_exception_fp_ieee_overflow 0
		.amdhsa_exception_fp_ieee_underflow 0
		.amdhsa_exception_fp_ieee_inexact 0
		.amdhsa_exception_int_div_zero 0
	.end_amdhsa_kernel
	.section	.text._ZN2at4cuda17kernelHistogram1DIfslLi1ELi2ELin1ELNS0_23CUDAHistogramMemoryTypeE0EZNS0_21CUDA_tensor_histogramIfsLb1EEEbNS_6TensorES4_S4_lNS_14AccumulateTypeIT0_Lb1EE4typeES8_NS0_13TensorArgTypeES9_S9_EUllE_EEvNS0_6detail10TensorInfoIT_T1_EESF_NSC_IKS6_SE_EElS8_S8_SE_T6_,"axG",@progbits,_ZN2at4cuda17kernelHistogram1DIfslLi1ELi2ELin1ELNS0_23CUDAHistogramMemoryTypeE0EZNS0_21CUDA_tensor_histogramIfsLb1EEEbNS_6TensorES4_S4_lNS_14AccumulateTypeIT0_Lb1EE4typeES8_NS0_13TensorArgTypeES9_S9_EUllE_EEvNS0_6detail10TensorInfoIT_T1_EESF_NSC_IKS6_SE_EElS8_S8_SE_T6_,comdat
.Lfunc_end48:
	.size	_ZN2at4cuda17kernelHistogram1DIfslLi1ELi2ELin1ELNS0_23CUDAHistogramMemoryTypeE0EZNS0_21CUDA_tensor_histogramIfsLb1EEEbNS_6TensorES4_S4_lNS_14AccumulateTypeIT0_Lb1EE4typeES8_NS0_13TensorArgTypeES9_S9_EUllE_EEvNS0_6detail10TensorInfoIT_T1_EESF_NSC_IKS6_SE_EElS8_S8_SE_T6_, .Lfunc_end48-_ZN2at4cuda17kernelHistogram1DIfslLi1ELi2ELin1ELNS0_23CUDAHistogramMemoryTypeE0EZNS0_21CUDA_tensor_histogramIfsLb1EEEbNS_6TensorES4_S4_lNS_14AccumulateTypeIT0_Lb1EE4typeES8_NS0_13TensorArgTypeES9_S9_EUllE_EEvNS0_6detail10TensorInfoIT_T1_EESF_NSC_IKS6_SE_EElS8_S8_SE_T6_
                                        ; -- End function
	.section	.AMDGPU.csdata,"",@progbits
; Kernel info:
; codeLenInByte = 3464
; NumSgprs: 53
; NumVgprs: 22
; NumAgprs: 0
; TotalNumVgprs: 22
; ScratchSize: 0
; MemoryBound: 0
; FloatMode: 240
; IeeeMode: 1
; LDSByteSize: 0 bytes/workgroup (compile time only)
; SGPRBlocks: 6
; VGPRBlocks: 2
; NumSGPRsForWavesPerEU: 53
; NumVGPRsForWavesPerEU: 22
; AccumOffset: 24
; Occupancy: 8
; WaveLimiterHint : 1
; COMPUTE_PGM_RSRC2:SCRATCH_EN: 0
; COMPUTE_PGM_RSRC2:USER_SGPR: 6
; COMPUTE_PGM_RSRC2:TRAP_HANDLER: 0
; COMPUTE_PGM_RSRC2:TGID_X_EN: 1
; COMPUTE_PGM_RSRC2:TGID_Y_EN: 0
; COMPUTE_PGM_RSRC2:TGID_Z_EN: 0
; COMPUTE_PGM_RSRC2:TIDIG_COMP_CNT: 0
; COMPUTE_PGM_RSRC3_GFX90A:ACCUM_OFFSET: 5
; COMPUTE_PGM_RSRC3_GFX90A:TG_SPLIT: 0
	.section	.text._ZN2at4cuda17kernelHistogram1DIfslLi1ELi2ELin1ELNS0_23CUDAHistogramMemoryTypeE1EZNS0_21CUDA_tensor_histogramIfsLb1EEEbNS_6TensorES4_S4_lNS_14AccumulateTypeIT0_Lb1EE4typeES8_NS0_13TensorArgTypeES9_S9_EUllE_EEvNS0_6detail10TensorInfoIT_T1_EESF_NSC_IKS6_SE_EElS8_S8_SE_T6_,"axG",@progbits,_ZN2at4cuda17kernelHistogram1DIfslLi1ELi2ELin1ELNS0_23CUDAHistogramMemoryTypeE1EZNS0_21CUDA_tensor_histogramIfsLb1EEEbNS_6TensorES4_S4_lNS_14AccumulateTypeIT0_Lb1EE4typeES8_NS0_13TensorArgTypeES9_S9_EUllE_EEvNS0_6detail10TensorInfoIT_T1_EESF_NSC_IKS6_SE_EElS8_S8_SE_T6_,comdat
	.protected	_ZN2at4cuda17kernelHistogram1DIfslLi1ELi2ELin1ELNS0_23CUDAHistogramMemoryTypeE1EZNS0_21CUDA_tensor_histogramIfsLb1EEEbNS_6TensorES4_S4_lNS_14AccumulateTypeIT0_Lb1EE4typeES8_NS0_13TensorArgTypeES9_S9_EUllE_EEvNS0_6detail10TensorInfoIT_T1_EESF_NSC_IKS6_SE_EElS8_S8_SE_T6_ ; -- Begin function _ZN2at4cuda17kernelHistogram1DIfslLi1ELi2ELin1ELNS0_23CUDAHistogramMemoryTypeE1EZNS0_21CUDA_tensor_histogramIfsLb1EEEbNS_6TensorES4_S4_lNS_14AccumulateTypeIT0_Lb1EE4typeES8_NS0_13TensorArgTypeES9_S9_EUllE_EEvNS0_6detail10TensorInfoIT_T1_EESF_NSC_IKS6_SE_EElS8_S8_SE_T6_
	.globl	_ZN2at4cuda17kernelHistogram1DIfslLi1ELi2ELin1ELNS0_23CUDAHistogramMemoryTypeE1EZNS0_21CUDA_tensor_histogramIfsLb1EEEbNS_6TensorES4_S4_lNS_14AccumulateTypeIT0_Lb1EE4typeES8_NS0_13TensorArgTypeES9_S9_EUllE_EEvNS0_6detail10TensorInfoIT_T1_EESF_NSC_IKS6_SE_EElS8_S8_SE_T6_
	.p2align	8
	.type	_ZN2at4cuda17kernelHistogram1DIfslLi1ELi2ELin1ELNS0_23CUDAHistogramMemoryTypeE1EZNS0_21CUDA_tensor_histogramIfsLb1EEEbNS_6TensorES4_S4_lNS_14AccumulateTypeIT0_Lb1EE4typeES8_NS0_13TensorArgTypeES9_S9_EUllE_EEvNS0_6detail10TensorInfoIT_T1_EESF_NSC_IKS6_SE_EElS8_S8_SE_T6_,@function
_ZN2at4cuda17kernelHistogram1DIfslLi1ELi2ELin1ELNS0_23CUDAHistogramMemoryTypeE1EZNS0_21CUDA_tensor_histogramIfsLb1EEEbNS_6TensorES4_S4_lNS_14AccumulateTypeIT0_Lb1EE4typeES8_NS0_13TensorArgTypeES9_S9_EUllE_EEvNS0_6detail10TensorInfoIT_T1_EESF_NSC_IKS6_SE_EElS8_S8_SE_T6_: ; @_ZN2at4cuda17kernelHistogram1DIfslLi1ELi2ELin1ELNS0_23CUDAHistogramMemoryTypeE1EZNS0_21CUDA_tensor_histogramIfsLb1EEEbNS_6TensorES4_S4_lNS_14AccumulateTypeIT0_Lb1EE4typeES8_NS0_13TensorArgTypeES9_S9_EUllE_EEvNS0_6detail10TensorInfoIT_T1_EESF_NSC_IKS6_SE_EElS8_S8_SE_T6_
; %bb.0:
	s_load_dword s2, s[4:5], 0x6ac
	s_load_dwordx8 s[8:15], s[4:5], 0x4e0
	s_add_u32 s0, s4, 0x6a0
	s_addc_u32 s1, s5, 0
	v_mov_b32_e32 v2, 0
	s_waitcnt lgkmcnt(0)
	s_and_b32 s2, s2, 0xffff
	s_mul_i32 s6, s6, s2
	v_add_u32_e32 v0, s6, v0
	v_mov_b32_e32 v1, v2
	v_cmp_gt_i64_e32 vcc, s[14:15], v[0:1]
	s_and_saveexec_b64 s[6:7], vcc
	s_cbranch_execz .LBB49_16
; %bb.1:
	s_load_dwordx2 s[6:7], s[4:5], 0x5d0
	s_load_dwordx2 s[16:17], s[4:5], 0x500
	s_load_dword s3, s[4:5], 0x4d8
	s_load_dwordx2 s[18:19], s[4:5], 0x0
	s_load_dwordx2 s[20:21], s[4:5], 0xd0
	s_load_dword s28, s[0:1], 0x0
	s_add_u32 s26, s4, 0x340
	s_addc_u32 s27, s5, 0
	s_mov_b32 s42, 0
	s_waitcnt lgkmcnt(0)
	s_cmp_gt_i32 s3, 1
	s_cselect_b64 s[0:1], -1, 0
	s_sub_u32 s33, s12, s10
	s_subb_u32 s40, s13, s11
	s_mul_i32 s41, s28, s2
	s_add_i32 s43, s3, 1
	s_add_i32 s2, s3, -1
	s_mov_b32 s3, s42
	s_load_dwordx2 s[22:23], s[4:5], 0x410
	s_load_dwordx2 s[24:25], s[4:5], 0x340
	s_lshl_b64 s[2:3], s[2:3], 3
	s_add_u32 s2, s2, s26
	s_addc_u32 s3, s3, s27
	s_add_u32 s4, s2, 8
	v_cndmask_b32_e64 v3, 0, 1, s[0:1]
	s_addc_u32 s5, s3, 0
	s_mov_b64 s[26:27], 0
	v_cmp_ne_u32_e64 s[0:1], 1, v3
	s_branch .LBB49_4
.LBB49_2:                               ;   in Loop: Header=BB49_4 Depth=1
	s_or_b64 exec, exec, s[2:3]
	v_mul_lo_u32 v3, v1, s6
	v_mul_lo_u32 v7, v0, s7
	v_mad_u64_u32 v[4:5], s[2:3], v0, s6, 0
	v_add3_u32 v5, v5, v7, v3
	v_lshlrev_b64 v[4:5], 2, v[4:5]
	v_mov_b32_e32 v3, s17
	v_add_co_u32_e32 v4, vcc, s16, v4
	v_addc_co_u32_e32 v5, vcc, v3, v5, vcc
	global_load_dword v3, v[4:5], off
	v_ashrrev_i32_e32 v7, 31, v6
	v_cmp_eq_u64_e32 vcc, s[8:9], v[6:7]
	v_cndmask_b32_e64 v4, 0, 1, vcc
	v_sub_co_u32_e32 v4, vcc, v6, v4
	v_subbrev_co_u32_e32 v5, vcc, 0, v7, vcc
	v_mul_lo_u32 v6, v5, s20
	v_mul_lo_u32 v7, v4, s21
	v_mad_u64_u32 v[4:5], s[2:3], v4, s20, 0
	v_add3_u32 v5, v5, v7, v6
	v_lshlrev_b64 v[4:5], 2, v[4:5]
	v_mov_b32_e32 v6, s19
	v_add_co_u32_e32 v4, vcc, s18, v4
	v_addc_co_u32_e32 v5, vcc, v6, v5, vcc
	s_waitcnt vmcnt(0)
	global_atomic_add_f32 v[4:5], v3, off
.LBB49_3:                               ;   in Loop: Header=BB49_4 Depth=1
	s_or_b64 exec, exec, s[28:29]
	v_mov_b32_e32 v3, s42
	v_add_co_u32_e32 v0, vcc, s41, v0
	v_addc_co_u32_e32 v1, vcc, v1, v3, vcc
	v_cmp_le_i64_e32 vcc, s[14:15], v[0:1]
	s_or_b64 s[26:27], vcc, s[26:27]
	s_andn2_b64 exec, exec, s[26:27]
	s_cbranch_execz .LBB49_16
.LBB49_4:                               ; =>This Loop Header: Depth=1
                                        ;     Child Loop BB49_5 Depth 2
	s_and_b64 vcc, exec, s[0:1]
	v_pk_mov_b32 v[4:5], 0, 0
	s_mov_b64 s[28:29], s[4:5]
	s_mov_b32 s44, s43
	v_pk_mov_b32 v[6:7], v[0:1], v[0:1] op_sel:[0,1]
	v_pk_mov_b32 v[8:9], v[0:1], v[0:1] op_sel:[0,1]
	s_cbranch_vccnz .LBB49_11
.LBB49_5:                               ;   Parent Loop BB49_4 Depth=1
                                        ; =>  This Inner Loop Header: Depth=2
	s_load_dwordx2 s[30:31], s[28:29], 0x0
                                        ; implicit-def: $vgpr8_vgpr9
	s_waitcnt lgkmcnt(0)
	v_or_b32_e32 v3, s31, v7
	v_cmp_ne_u64_e32 vcc, 0, v[2:3]
	s_and_saveexec_b64 s[2:3], vcc
	s_xor_b64 s[34:35], exec, s[2:3]
	s_cbranch_execz .LBB49_7
; %bb.6:                                ;   in Loop: Header=BB49_5 Depth=2
	s_ashr_i32 s36, s31, 31
	s_add_u32 s2, s30, s36
	s_mov_b32 s37, s36
	s_addc_u32 s3, s31, s36
	s_xor_b64 s[38:39], s[2:3], s[36:37]
	v_cvt_f32_u32_e32 v3, s38
	v_cvt_f32_u32_e32 v8, s39
	s_sub_u32 s2, 0, s38
	s_subb_u32 s3, 0, s39
	v_mac_f32_e32 v3, 0x4f800000, v8
	v_rcp_f32_e32 v3, v3
	v_mul_f32_e32 v3, 0x5f7ffffc, v3
	v_mul_f32_e32 v8, 0x2f800000, v3
	v_trunc_f32_e32 v8, v8
	v_mac_f32_e32 v3, 0xcf800000, v8
	v_cvt_u32_f32_e32 v8, v8
	v_cvt_u32_f32_e32 v3, v3
	v_mul_lo_u32 v9, s2, v8
	v_mul_hi_u32 v11, s2, v3
	v_mul_lo_u32 v10, s3, v3
	v_add_u32_e32 v9, v11, v9
	v_mul_lo_u32 v12, s2, v3
	v_add_u32_e32 v9, v9, v10
	v_mul_lo_u32 v11, v3, v9
	v_mul_hi_u32 v13, v3, v12
	v_mul_hi_u32 v10, v3, v9
	v_add_co_u32_e32 v11, vcc, v13, v11
	v_addc_co_u32_e32 v10, vcc, 0, v10, vcc
	v_mul_hi_u32 v14, v8, v12
	v_mul_lo_u32 v12, v8, v12
	v_add_co_u32_e32 v11, vcc, v11, v12
	v_mul_hi_u32 v13, v8, v9
	v_addc_co_u32_e32 v10, vcc, v10, v14, vcc
	v_addc_co_u32_e32 v11, vcc, 0, v13, vcc
	v_mul_lo_u32 v9, v8, v9
	v_add_co_u32_e32 v9, vcc, v10, v9
	v_addc_co_u32_e32 v10, vcc, 0, v11, vcc
	v_add_co_u32_e32 v3, vcc, v3, v9
	v_addc_co_u32_e32 v8, vcc, v8, v10, vcc
	v_mul_lo_u32 v9, s2, v8
	v_mul_hi_u32 v10, s2, v3
	v_add_u32_e32 v9, v10, v9
	v_mul_lo_u32 v10, s3, v3
	v_add_u32_e32 v9, v9, v10
	v_mul_lo_u32 v11, s2, v3
	v_mul_hi_u32 v12, v8, v11
	v_mul_lo_u32 v13, v8, v11
	v_mul_lo_u32 v15, v3, v9
	v_mul_hi_u32 v11, v3, v11
	v_mul_hi_u32 v14, v3, v9
	v_add_co_u32_e32 v11, vcc, v11, v15
	v_addc_co_u32_e32 v14, vcc, 0, v14, vcc
	v_add_co_u32_e32 v11, vcc, v11, v13
	v_mul_hi_u32 v10, v8, v9
	v_addc_co_u32_e32 v11, vcc, v14, v12, vcc
	v_addc_co_u32_e32 v10, vcc, 0, v10, vcc
	v_mul_lo_u32 v9, v8, v9
	v_add_co_u32_e32 v9, vcc, v11, v9
	v_addc_co_u32_e32 v10, vcc, 0, v10, vcc
	v_add_co_u32_e32 v3, vcc, v3, v9
	v_addc_co_u32_e32 v10, vcc, v8, v10, vcc
	v_ashrrev_i32_e32 v12, 31, v7
	v_add_co_u32_e32 v8, vcc, v6, v12
	v_addc_co_u32_e32 v9, vcc, v7, v12, vcc
	v_xor_b32_e32 v14, v8, v12
	v_xor_b32_e32 v13, v9, v12
	v_mad_u64_u32 v[8:9], s[2:3], v14, v10, 0
	v_mul_hi_u32 v11, v14, v3
	v_add_co_u32_e32 v15, vcc, v11, v8
	v_addc_co_u32_e32 v16, vcc, 0, v9, vcc
	v_mad_u64_u32 v[8:9], s[2:3], v13, v10, 0
	v_mad_u64_u32 v[10:11], s[2:3], v13, v3, 0
	v_add_co_u32_e32 v3, vcc, v15, v10
	v_addc_co_u32_e32 v3, vcc, v16, v11, vcc
	v_addc_co_u32_e32 v9, vcc, 0, v9, vcc
	v_add_co_u32_e32 v3, vcc, v3, v8
	v_addc_co_u32_e32 v10, vcc, 0, v9, vcc
	v_mul_lo_u32 v11, s39, v3
	v_mul_lo_u32 v15, s38, v10
	v_mad_u64_u32 v[8:9], s[2:3], s38, v3, 0
	v_add3_u32 v9, v9, v15, v11
	v_sub_u32_e32 v11, v13, v9
	v_mov_b32_e32 v15, s39
	v_sub_co_u32_e32 v8, vcc, v14, v8
	v_subb_co_u32_e64 v11, s[2:3], v11, v15, vcc
	v_subrev_co_u32_e64 v14, s[2:3], s38, v8
	v_subbrev_co_u32_e64 v11, s[2:3], 0, v11, s[2:3]
	v_cmp_le_u32_e64 s[2:3], s39, v11
	v_cndmask_b32_e64 v15, 0, -1, s[2:3]
	v_cmp_le_u32_e64 s[2:3], s38, v14
	v_cndmask_b32_e64 v14, 0, -1, s[2:3]
	v_cmp_eq_u32_e64 s[2:3], s39, v11
	v_cndmask_b32_e64 v11, v15, v14, s[2:3]
	v_add_co_u32_e64 v14, s[2:3], 2, v3
	v_subb_co_u32_e32 v9, vcc, v13, v9, vcc
	v_addc_co_u32_e64 v15, s[2:3], 0, v10, s[2:3]
	v_cmp_le_u32_e32 vcc, s39, v9
	v_add_co_u32_e64 v16, s[2:3], 1, v3
	v_cndmask_b32_e64 v13, 0, -1, vcc
	v_cmp_le_u32_e32 vcc, s38, v8
	v_addc_co_u32_e64 v17, s[2:3], 0, v10, s[2:3]
	v_cndmask_b32_e64 v8, 0, -1, vcc
	v_cmp_eq_u32_e32 vcc, s39, v9
	v_cmp_ne_u32_e64 s[2:3], 0, v11
	v_cndmask_b32_e32 v8, v13, v8, vcc
	v_cmp_ne_u32_e32 vcc, 0, v8
	v_cndmask_b32_e64 v9, v16, v14, s[2:3]
	v_cndmask_b32_e64 v11, v17, v15, s[2:3]
	v_cndmask_b32_e32 v3, v3, v9, vcc
	v_xor_b32_e32 v9, s36, v12
	v_cndmask_b32_e32 v8, v10, v11, vcc
	v_xor_b32_e32 v3, v3, v9
	v_xor_b32_e32 v10, v8, v9
	v_sub_co_u32_e32 v8, vcc, v3, v9
	v_subb_co_u32_e32 v9, vcc, v10, v9, vcc
.LBB49_7:                               ;   in Loop: Header=BB49_5 Depth=2
	s_andn2_saveexec_b64 s[2:3], s[34:35]
	s_cbranch_execz .LBB49_9
; %bb.8:                                ;   in Loop: Header=BB49_5 Depth=2
	v_cvt_f32_u32_e32 v3, s30
	s_sub_i32 s34, 0, s30
	v_rcp_iflag_f32_e32 v3, v3
	v_mul_f32_e32 v3, 0x4f7ffffe, v3
	v_cvt_u32_f32_e32 v3, v3
	v_mul_lo_u32 v8, s34, v3
	v_mul_hi_u32 v8, v3, v8
	v_add_u32_e32 v3, v3, v8
	v_mul_hi_u32 v3, v6, v3
	v_mul_lo_u32 v8, v3, s30
	v_sub_u32_e32 v8, v6, v8
	v_add_u32_e32 v9, 1, v3
	v_subrev_u32_e32 v10, s30, v8
	v_cmp_le_u32_e32 vcc, s30, v8
	v_cndmask_b32_e32 v8, v8, v10, vcc
	v_cndmask_b32_e32 v3, v3, v9, vcc
	v_add_u32_e32 v9, 1, v3
	v_cmp_le_u32_e32 vcc, s30, v8
	v_cndmask_b32_e32 v8, v3, v9, vcc
	v_mov_b32_e32 v9, v2
.LBB49_9:                               ;   in Loop: Header=BB49_5 Depth=2
	s_or_b64 exec, exec, s[2:3]
	v_mad_u64_u32 v[10:11], s[2:3], v8, s30, 0
	s_load_dwordx2 s[2:3], s[28:29], 0xc8
	v_mul_lo_u32 v3, v9, s30
	v_mul_lo_u32 v12, v8, s31
	v_add3_u32 v3, v11, v12, v3
	v_sub_co_u32_e32 v6, vcc, v6, v10
	s_add_i32 s44, s44, -1
	v_subb_co_u32_e32 v3, vcc, v7, v3, vcc
	s_add_u32 s28, s28, -8
	s_waitcnt lgkmcnt(0)
	v_mul_lo_u32 v3, s2, v3
	v_mul_lo_u32 v7, s3, v6
	v_mad_u64_u32 v[4:5], s[2:3], s2, v6, v[4:5]
	s_addc_u32 s29, s29, -1
	s_cmp_gt_u32 s44, 2
	v_add3_u32 v5, v7, v5, v3
	s_cbranch_scc0 .LBB49_11
; %bb.10:                               ;   in Loop: Header=BB49_5 Depth=2
	v_pk_mov_b32 v[6:7], v[8:9], v[8:9] op_sel:[0,1]
	s_branch .LBB49_5
.LBB49_11:                              ;   in Loop: Header=BB49_4 Depth=1
	s_waitcnt lgkmcnt(0)
	v_mul_lo_u32 v3, s23, v8
	v_mul_lo_u32 v9, s22, v9
	v_mad_u64_u32 v[6:7], s[2:3], s22, v8, 0
	v_add3_u32 v7, v7, v9, v3
	v_lshlrev_b64 v[6:7], 1, v[6:7]
	v_mov_b32_e32 v3, s25
	v_add_co_u32_e32 v6, vcc, s24, v6
	v_addc_co_u32_e32 v3, vcc, v3, v7, vcc
	v_lshlrev_b64 v[4:5], 1, v[4:5]
	v_add_co_u32_e32 v4, vcc, v6, v4
	v_addc_co_u32_e32 v5, vcc, v3, v5, vcc
	global_load_ushort v3, v[4:5], off
	s_waitcnt vmcnt(0)
	v_bfe_i32 v4, v3, 0, 16
	v_ashrrev_i32_e32 v5, 31, v4
	v_cmp_le_i64_e32 vcc, s[10:11], v[4:5]
	v_cmp_ge_i64_e64 s[2:3], s[12:13], v[4:5]
	s_and_b64 s[2:3], vcc, s[2:3]
	s_and_saveexec_b64 s[28:29], s[2:3]
	s_cbranch_execz .LBB49_3
; %bb.12:                               ;   in Loop: Header=BB49_4 Depth=1
	v_mov_b32_e32 v3, s11
	v_subrev_co_u32_e32 v4, vcc, s10, v4
	v_subb_co_u32_e32 v3, vcc, v5, v3, vcc
	v_mul_lo_u32 v3, v3, s8
	v_mul_lo_u32 v6, v4, s9
	v_mad_u64_u32 v[4:5], s[2:3], v4, s8, 0
	v_add3_u32 v5, v5, v6, v3
	v_or_b32_e32 v3, s40, v5
	v_cmp_ne_u64_e32 vcc, 0, v[2:3]
                                        ; implicit-def: $vgpr6_vgpr7
	s_and_saveexec_b64 s[2:3], vcc
	s_xor_b64 s[30:31], exec, s[2:3]
	s_cbranch_execz .LBB49_14
; %bb.13:                               ;   in Loop: Header=BB49_4 Depth=1
	s_ashr_i32 s34, s40, 31
	s_add_u32 s2, s33, s34
	s_mov_b32 s35, s34
	s_addc_u32 s3, s40, s34
	s_xor_b64 s[36:37], s[2:3], s[34:35]
	v_cvt_f32_u32_e32 v3, s36
	v_cvt_f32_u32_e32 v6, s37
	s_sub_u32 s2, 0, s36
	s_subb_u32 s3, 0, s37
	v_mac_f32_e32 v3, 0x4f800000, v6
	v_rcp_f32_e32 v3, v3
	v_mul_f32_e32 v3, 0x5f7ffffc, v3
	v_mul_f32_e32 v6, 0x2f800000, v3
	v_trunc_f32_e32 v6, v6
	v_mac_f32_e32 v3, 0xcf800000, v6
	v_cvt_u32_f32_e32 v6, v6
	v_cvt_u32_f32_e32 v3, v3
	v_mul_lo_u32 v7, s2, v6
	v_mul_hi_u32 v9, s2, v3
	v_mul_lo_u32 v8, s3, v3
	v_add_u32_e32 v7, v9, v7
	v_mul_lo_u32 v10, s2, v3
	v_add_u32_e32 v7, v7, v8
	v_mul_lo_u32 v9, v3, v7
	v_mul_hi_u32 v11, v3, v10
	v_mul_hi_u32 v8, v3, v7
	v_add_co_u32_e32 v9, vcc, v11, v9
	v_addc_co_u32_e32 v8, vcc, 0, v8, vcc
	v_mul_hi_u32 v12, v6, v10
	v_mul_lo_u32 v10, v6, v10
	v_add_co_u32_e32 v9, vcc, v9, v10
	v_mul_hi_u32 v11, v6, v7
	v_addc_co_u32_e32 v8, vcc, v8, v12, vcc
	v_addc_co_u32_e32 v9, vcc, 0, v11, vcc
	v_mul_lo_u32 v7, v6, v7
	v_add_co_u32_e32 v7, vcc, v8, v7
	v_addc_co_u32_e32 v8, vcc, 0, v9, vcc
	v_add_co_u32_e32 v3, vcc, v3, v7
	v_addc_co_u32_e32 v6, vcc, v6, v8, vcc
	v_mul_lo_u32 v7, s2, v6
	v_mul_hi_u32 v8, s2, v3
	v_add_u32_e32 v7, v8, v7
	v_mul_lo_u32 v8, s3, v3
	v_add_u32_e32 v7, v7, v8
	v_mul_lo_u32 v9, s2, v3
	v_mul_hi_u32 v10, v6, v9
	v_mul_lo_u32 v11, v6, v9
	v_mul_lo_u32 v13, v3, v7
	v_mul_hi_u32 v9, v3, v9
	v_mul_hi_u32 v12, v3, v7
	v_add_co_u32_e32 v9, vcc, v9, v13
	v_addc_co_u32_e32 v12, vcc, 0, v12, vcc
	v_add_co_u32_e32 v9, vcc, v9, v11
	v_mul_hi_u32 v8, v6, v7
	v_addc_co_u32_e32 v9, vcc, v12, v10, vcc
	v_addc_co_u32_e32 v8, vcc, 0, v8, vcc
	v_mul_lo_u32 v7, v6, v7
	v_add_co_u32_e32 v7, vcc, v9, v7
	v_addc_co_u32_e32 v8, vcc, 0, v8, vcc
	v_add_co_u32_e32 v3, vcc, v3, v7
	v_addc_co_u32_e32 v6, vcc, v6, v8, vcc
	v_ashrrev_i32_e32 v8, 31, v5
	v_add_co_u32_e32 v4, vcc, v4, v8
	v_addc_co_u32_e32 v5, vcc, v5, v8, vcc
	v_xor_b32_e32 v10, v4, v8
	v_xor_b32_e32 v9, v5, v8
	v_mad_u64_u32 v[4:5], s[2:3], v10, v6, 0
	v_mul_hi_u32 v7, v10, v3
	v_add_co_u32_e32 v11, vcc, v7, v4
	v_addc_co_u32_e32 v12, vcc, 0, v5, vcc
	v_mad_u64_u32 v[4:5], s[2:3], v9, v6, 0
	v_mad_u64_u32 v[6:7], s[2:3], v9, v3, 0
	v_add_co_u32_e32 v3, vcc, v11, v6
	v_addc_co_u32_e32 v3, vcc, v12, v7, vcc
	v_addc_co_u32_e32 v5, vcc, 0, v5, vcc
	v_add_co_u32_e32 v3, vcc, v3, v4
	v_addc_co_u32_e32 v4, vcc, 0, v5, vcc
	v_mul_lo_u32 v6, s37, v3
	v_mul_lo_u32 v7, s36, v4
	v_mad_u64_u32 v[4:5], s[2:3], s36, v3, 0
	v_add3_u32 v5, v5, v7, v6
	v_sub_u32_e32 v6, v9, v5
	v_mov_b32_e32 v7, s37
	v_sub_co_u32_e32 v4, vcc, v10, v4
	v_subb_co_u32_e64 v6, s[2:3], v6, v7, vcc
	v_subrev_co_u32_e64 v7, s[2:3], s36, v4
	v_subbrev_co_u32_e64 v6, s[2:3], 0, v6, s[2:3]
	v_cmp_le_u32_e64 s[2:3], s37, v6
	v_subb_co_u32_e32 v5, vcc, v9, v5, vcc
	v_cndmask_b32_e64 v10, 0, -1, s[2:3]
	v_cmp_le_u32_e64 s[2:3], s36, v7
	v_cmp_le_u32_e32 vcc, s37, v5
	v_cndmask_b32_e64 v7, 0, -1, s[2:3]
	v_cmp_eq_u32_e64 s[2:3], s37, v6
	v_cndmask_b32_e64 v9, 0, -1, vcc
	v_cmp_le_u32_e32 vcc, s36, v4
	v_cndmask_b32_e64 v6, v10, v7, s[2:3]
	v_cndmask_b32_e64 v4, 0, -1, vcc
	v_cmp_eq_u32_e32 vcc, s37, v5
	v_add_co_u32_e64 v7, s[2:3], 2, v3
	v_add_co_u32_e64 v10, s[2:3], 1, v3
	v_cndmask_b32_e32 v4, v9, v4, vcc
	v_cmp_ne_u32_e32 vcc, 0, v6
	v_cndmask_b32_e32 v5, v10, v7, vcc
	v_cmp_ne_u32_e32 vcc, 0, v4
	v_cndmask_b32_e32 v3, v3, v5, vcc
	v_xor_b32_e32 v4, s34, v8
	v_xor_b32_e32 v3, v3, v4
	v_sub_co_u32_e32 v6, vcc, v3, v4
                                        ; implicit-def: $vgpr4_vgpr5
.LBB49_14:                              ;   in Loop: Header=BB49_4 Depth=1
	s_andn2_saveexec_b64 s[2:3], s[30:31]
	s_cbranch_execz .LBB49_2
; %bb.15:                               ;   in Loop: Header=BB49_4 Depth=1
	v_cvt_f32_u32_e32 v3, s33
	s_sub_i32 s30, 0, s33
	v_rcp_iflag_f32_e32 v3, v3
	v_mul_f32_e32 v3, 0x4f7ffffe, v3
	v_cvt_u32_f32_e32 v3, v3
	v_mul_lo_u32 v5, s30, v3
	v_mul_hi_u32 v5, v3, v5
	v_add_u32_e32 v3, v3, v5
	v_mul_hi_u32 v3, v4, v3
	v_mul_lo_u32 v5, v3, s33
	v_sub_u32_e32 v4, v4, v5
	v_add_u32_e32 v6, 1, v3
	v_subrev_u32_e32 v5, s33, v4
	v_cmp_le_u32_e32 vcc, s33, v4
	v_cndmask_b32_e32 v4, v4, v5, vcc
	v_cndmask_b32_e32 v3, v3, v6, vcc
	v_add_u32_e32 v5, 1, v3
	v_cmp_le_u32_e32 vcc, s33, v4
	v_cndmask_b32_e32 v6, v3, v5, vcc
	s_branch .LBB49_2
.LBB49_16:
	s_endpgm
	.section	.rodata,"a",@progbits
	.p2align	6, 0x0
	.amdhsa_kernel _ZN2at4cuda17kernelHistogram1DIfslLi1ELi2ELin1ELNS0_23CUDAHistogramMemoryTypeE1EZNS0_21CUDA_tensor_histogramIfsLb1EEEbNS_6TensorES4_S4_lNS_14AccumulateTypeIT0_Lb1EE4typeES8_NS0_13TensorArgTypeES9_S9_EUllE_EEvNS0_6detail10TensorInfoIT_T1_EESF_NSC_IKS6_SE_EElS8_S8_SE_T6_
		.amdhsa_group_segment_fixed_size 0
		.amdhsa_private_segment_fixed_size 0
		.amdhsa_kernarg_size 1952
		.amdhsa_user_sgpr_count 6
		.amdhsa_user_sgpr_private_segment_buffer 1
		.amdhsa_user_sgpr_dispatch_ptr 0
		.amdhsa_user_sgpr_queue_ptr 0
		.amdhsa_user_sgpr_kernarg_segment_ptr 1
		.amdhsa_user_sgpr_dispatch_id 0
		.amdhsa_user_sgpr_flat_scratch_init 0
		.amdhsa_user_sgpr_kernarg_preload_length 0
		.amdhsa_user_sgpr_kernarg_preload_offset 0
		.amdhsa_user_sgpr_private_segment_size 0
		.amdhsa_uses_dynamic_stack 0
		.amdhsa_system_sgpr_private_segment_wavefront_offset 0
		.amdhsa_system_sgpr_workgroup_id_x 1
		.amdhsa_system_sgpr_workgroup_id_y 0
		.amdhsa_system_sgpr_workgroup_id_z 0
		.amdhsa_system_sgpr_workgroup_info 0
		.amdhsa_system_vgpr_workitem_id 0
		.amdhsa_next_free_vgpr 18
		.amdhsa_next_free_sgpr 45
		.amdhsa_accum_offset 20
		.amdhsa_reserve_vcc 1
		.amdhsa_reserve_flat_scratch 0
		.amdhsa_float_round_mode_32 0
		.amdhsa_float_round_mode_16_64 0
		.amdhsa_float_denorm_mode_32 3
		.amdhsa_float_denorm_mode_16_64 3
		.amdhsa_dx10_clamp 1
		.amdhsa_ieee_mode 1
		.amdhsa_fp16_overflow 0
		.amdhsa_tg_split 0
		.amdhsa_exception_fp_ieee_invalid_op 0
		.amdhsa_exception_fp_denorm_src 0
		.amdhsa_exception_fp_ieee_div_zero 0
		.amdhsa_exception_fp_ieee_overflow 0
		.amdhsa_exception_fp_ieee_underflow 0
		.amdhsa_exception_fp_ieee_inexact 0
		.amdhsa_exception_int_div_zero 0
	.end_amdhsa_kernel
	.section	.text._ZN2at4cuda17kernelHistogram1DIfslLi1ELi2ELin1ELNS0_23CUDAHistogramMemoryTypeE1EZNS0_21CUDA_tensor_histogramIfsLb1EEEbNS_6TensorES4_S4_lNS_14AccumulateTypeIT0_Lb1EE4typeES8_NS0_13TensorArgTypeES9_S9_EUllE_EEvNS0_6detail10TensorInfoIT_T1_EESF_NSC_IKS6_SE_EElS8_S8_SE_T6_,"axG",@progbits,_ZN2at4cuda17kernelHistogram1DIfslLi1ELi2ELin1ELNS0_23CUDAHistogramMemoryTypeE1EZNS0_21CUDA_tensor_histogramIfsLb1EEEbNS_6TensorES4_S4_lNS_14AccumulateTypeIT0_Lb1EE4typeES8_NS0_13TensorArgTypeES9_S9_EUllE_EEvNS0_6detail10TensorInfoIT_T1_EESF_NSC_IKS6_SE_EElS8_S8_SE_T6_,comdat
.Lfunc_end49:
	.size	_ZN2at4cuda17kernelHistogram1DIfslLi1ELi2ELin1ELNS0_23CUDAHistogramMemoryTypeE1EZNS0_21CUDA_tensor_histogramIfsLb1EEEbNS_6TensorES4_S4_lNS_14AccumulateTypeIT0_Lb1EE4typeES8_NS0_13TensorArgTypeES9_S9_EUllE_EEvNS0_6detail10TensorInfoIT_T1_EESF_NSC_IKS6_SE_EElS8_S8_SE_T6_, .Lfunc_end49-_ZN2at4cuda17kernelHistogram1DIfslLi1ELi2ELin1ELNS0_23CUDAHistogramMemoryTypeE1EZNS0_21CUDA_tensor_histogramIfsLb1EEEbNS_6TensorES4_S4_lNS_14AccumulateTypeIT0_Lb1EE4typeES8_NS0_13TensorArgTypeES9_S9_EUllE_EEvNS0_6detail10TensorInfoIT_T1_EESF_NSC_IKS6_SE_EElS8_S8_SE_T6_
                                        ; -- End function
	.section	.AMDGPU.csdata,"",@progbits
; Kernel info:
; codeLenInByte = 2300
; NumSgprs: 49
; NumVgprs: 18
; NumAgprs: 0
; TotalNumVgprs: 18
; ScratchSize: 0
; MemoryBound: 0
; FloatMode: 240
; IeeeMode: 1
; LDSByteSize: 0 bytes/workgroup (compile time only)
; SGPRBlocks: 6
; VGPRBlocks: 2
; NumSGPRsForWavesPerEU: 49
; NumVGPRsForWavesPerEU: 18
; AccumOffset: 20
; Occupancy: 8
; WaveLimiterHint : 1
; COMPUTE_PGM_RSRC2:SCRATCH_EN: 0
; COMPUTE_PGM_RSRC2:USER_SGPR: 6
; COMPUTE_PGM_RSRC2:TRAP_HANDLER: 0
; COMPUTE_PGM_RSRC2:TGID_X_EN: 1
; COMPUTE_PGM_RSRC2:TGID_Y_EN: 0
; COMPUTE_PGM_RSRC2:TGID_Z_EN: 0
; COMPUTE_PGM_RSRC2:TIDIG_COMP_CNT: 0
; COMPUTE_PGM_RSRC3_GFX90A:ACCUM_OFFSET: 4
; COMPUTE_PGM_RSRC3_GFX90A:TG_SPLIT: 0
	.section	.text._ZN2at4cuda17kernelHistogram1DIfslLi1ELi2ELin1ELNS0_23CUDAHistogramMemoryTypeE0EZNS0_21CUDA_tensor_histogramIfsLb1EEEbNS_6TensorES4_S4_lNS_14AccumulateTypeIT0_Lb1EE4typeES8_NS0_13TensorArgTypeES9_S9_EUllE0_EEvNS0_6detail10TensorInfoIT_T1_EESF_NSC_IKS6_SE_EElS8_S8_SE_T6_,"axG",@progbits,_ZN2at4cuda17kernelHistogram1DIfslLi1ELi2ELin1ELNS0_23CUDAHistogramMemoryTypeE0EZNS0_21CUDA_tensor_histogramIfsLb1EEEbNS_6TensorES4_S4_lNS_14AccumulateTypeIT0_Lb1EE4typeES8_NS0_13TensorArgTypeES9_S9_EUllE0_EEvNS0_6detail10TensorInfoIT_T1_EESF_NSC_IKS6_SE_EElS8_S8_SE_T6_,comdat
	.protected	_ZN2at4cuda17kernelHistogram1DIfslLi1ELi2ELin1ELNS0_23CUDAHistogramMemoryTypeE0EZNS0_21CUDA_tensor_histogramIfsLb1EEEbNS_6TensorES4_S4_lNS_14AccumulateTypeIT0_Lb1EE4typeES8_NS0_13TensorArgTypeES9_S9_EUllE0_EEvNS0_6detail10TensorInfoIT_T1_EESF_NSC_IKS6_SE_EElS8_S8_SE_T6_ ; -- Begin function _ZN2at4cuda17kernelHistogram1DIfslLi1ELi2ELin1ELNS0_23CUDAHistogramMemoryTypeE0EZNS0_21CUDA_tensor_histogramIfsLb1EEEbNS_6TensorES4_S4_lNS_14AccumulateTypeIT0_Lb1EE4typeES8_NS0_13TensorArgTypeES9_S9_EUllE0_EEvNS0_6detail10TensorInfoIT_T1_EESF_NSC_IKS6_SE_EElS8_S8_SE_T6_
	.globl	_ZN2at4cuda17kernelHistogram1DIfslLi1ELi2ELin1ELNS0_23CUDAHistogramMemoryTypeE0EZNS0_21CUDA_tensor_histogramIfsLb1EEEbNS_6TensorES4_S4_lNS_14AccumulateTypeIT0_Lb1EE4typeES8_NS0_13TensorArgTypeES9_S9_EUllE0_EEvNS0_6detail10TensorInfoIT_T1_EESF_NSC_IKS6_SE_EElS8_S8_SE_T6_
	.p2align	8
	.type	_ZN2at4cuda17kernelHistogram1DIfslLi1ELi2ELin1ELNS0_23CUDAHistogramMemoryTypeE0EZNS0_21CUDA_tensor_histogramIfsLb1EEEbNS_6TensorES4_S4_lNS_14AccumulateTypeIT0_Lb1EE4typeES8_NS0_13TensorArgTypeES9_S9_EUllE0_EEvNS0_6detail10TensorInfoIT_T1_EESF_NSC_IKS6_SE_EElS8_S8_SE_T6_,@function
_ZN2at4cuda17kernelHistogram1DIfslLi1ELi2ELin1ELNS0_23CUDAHistogramMemoryTypeE0EZNS0_21CUDA_tensor_histogramIfsLb1EEEbNS_6TensorES4_S4_lNS_14AccumulateTypeIT0_Lb1EE4typeES8_NS0_13TensorArgTypeES9_S9_EUllE0_EEvNS0_6detail10TensorInfoIT_T1_EESF_NSC_IKS6_SE_EElS8_S8_SE_T6_: ; @_ZN2at4cuda17kernelHistogram1DIfslLi1ELi2ELin1ELNS0_23CUDAHistogramMemoryTypeE0EZNS0_21CUDA_tensor_histogramIfsLb1EEEbNS_6TensorES4_S4_lNS_14AccumulateTypeIT0_Lb1EE4typeES8_NS0_13TensorArgTypeES9_S9_EUllE0_EEvNS0_6detail10TensorInfoIT_T1_EESF_NSC_IKS6_SE_EElS8_S8_SE_T6_
; %bb.0:
	s_load_dwordx4 s[16:19], s[4:5], 0x0
	v_mov_b32_e32 v1, 0
	s_add_u32 s22, s4, 0x508
	s_addc_u32 s23, s5, 0
                                        ; implicit-def: $sgpr7
	s_waitcnt lgkmcnt(0)
	v_cmp_gt_i64_e64 s[0:1], s[18:19], v[0:1]
	v_cmp_le_i64_e32 vcc, s[18:19], v[0:1]
	s_and_saveexec_b64 s[2:3], vcc
	s_xor_b64 s[2:3], exec, s[2:3]
	s_cbranch_execz .LBB50_2
; %bb.1:
	s_load_dword s7, s[22:23], 0xc
.LBB50_2:
	s_or_saveexec_b64 s[8:9], s[2:3]
	s_load_dwordx2 s[20:21], s[4:5], 0xd0
	s_waitcnt lgkmcnt(0)
	v_mov_b32_e32 v4, s7
	s_xor_b64 exec, exec, s[8:9]
	s_cbranch_execz .LBB50_16
; %bb.3:
	s_load_dword s7, s[22:23], 0xc
	v_mov_b32_e32 v2, s19
	s_mov_b32 s13, 0
	s_waitcnt lgkmcnt(0)
	s_and_b32 s12, s7, 0xffff
	v_add_co_u32_e32 v4, vcc, s12, v0
	v_addc_co_u32_e64 v5, s[2:3], 0, 0, vcc
	v_cmp_gt_i64_e32 vcc, s[18:19], v[4:5]
	v_cndmask_b32_e32 v6, v5, v2, vcc
	v_mov_b32_e32 v2, s18
	v_cndmask_b32_e32 v3, v4, v2, vcc
	v_cndmask_b32_e64 v2, 0, 1, vcc
	v_add_co_u32_e32 v4, vcc, v4, v2
	v_addc_co_u32_e32 v5, vcc, 0, v5, vcc
	v_sub_co_u32_e32 v3, vcc, v3, v4
	v_subb_co_u32_e32 v5, vcc, v6, v5, vcc
	v_mov_b32_e32 v4, 0
	v_cmp_ne_u64_e32 vcc, 0, v[4:5]
                                        ; implicit-def: $vgpr6_vgpr7
	s_and_saveexec_b64 s[2:3], vcc
	s_xor_b64 s[10:11], exec, s[2:3]
	s_cbranch_execz .LBB50_5
; %bb.4:
	v_cvt_f32_u32_e32 v4, s12
	v_mov_b32_e32 v6, 0x4f800000
	s_sub_u32 s2, 0, s12
	s_subb_u32 s3, 0, 0
	v_mac_f32_e32 v4, 0, v6
	v_rcp_f32_e32 v4, v4
	v_mul_f32_e32 v4, 0x5f7ffffc, v4
	v_mul_f32_e32 v6, 0x2f800000, v4
	v_trunc_f32_e32 v6, v6
	v_madmk_f32 v4, v6, 0xcf800000, v4
	v_cvt_u32_f32_e32 v6, v6
	v_cvt_u32_f32_e32 v4, v4
	v_mul_lo_u32 v7, s2, v6
	v_mul_hi_u32 v9, s2, v4
	v_mul_lo_u32 v8, s3, v4
	v_add_u32_e32 v7, v9, v7
	v_mul_lo_u32 v10, s2, v4
	v_add_u32_e32 v7, v7, v8
	v_mul_hi_u32 v9, v4, v10
	v_mul_lo_u32 v11, v4, v7
	v_mul_hi_u32 v8, v4, v7
	v_add_co_u32_e32 v9, vcc, v9, v11
	v_addc_co_u32_e32 v8, vcc, 0, v8, vcc
	v_mul_hi_u32 v12, v6, v10
	v_mul_lo_u32 v10, v6, v10
	v_add_co_u32_e32 v9, vcc, v9, v10
	v_mul_hi_u32 v11, v6, v7
	v_addc_co_u32_e32 v8, vcc, v8, v12, vcc
	v_addc_co_u32_e32 v9, vcc, 0, v11, vcc
	v_mul_lo_u32 v7, v6, v7
	v_add_co_u32_e32 v7, vcc, v8, v7
	v_addc_co_u32_e32 v8, vcc, 0, v9, vcc
	v_add_co_u32_e32 v4, vcc, v4, v7
	v_addc_co_u32_e32 v6, vcc, v6, v8, vcc
	v_mul_lo_u32 v7, s2, v6
	v_mul_hi_u32 v8, s2, v4
	v_add_u32_e32 v7, v8, v7
	v_mul_lo_u32 v8, s3, v4
	v_add_u32_e32 v7, v7, v8
	v_mul_lo_u32 v9, s2, v4
	v_mul_hi_u32 v10, v6, v9
	v_mul_lo_u32 v11, v6, v9
	v_mul_lo_u32 v13, v4, v7
	v_mul_hi_u32 v9, v4, v9
	v_mul_hi_u32 v12, v4, v7
	v_add_co_u32_e32 v9, vcc, v9, v13
	v_addc_co_u32_e32 v12, vcc, 0, v12, vcc
	v_add_co_u32_e32 v9, vcc, v9, v11
	v_mul_hi_u32 v8, v6, v7
	v_addc_co_u32_e32 v9, vcc, v12, v10, vcc
	v_addc_co_u32_e32 v8, vcc, 0, v8, vcc
	v_mul_lo_u32 v7, v6, v7
	v_add_co_u32_e32 v7, vcc, v9, v7
	v_addc_co_u32_e32 v8, vcc, 0, v8, vcc
	v_add_co_u32_e32 v4, vcc, v4, v7
	v_addc_co_u32_e32 v8, vcc, v6, v8, vcc
	v_mad_u64_u32 v[6:7], s[2:3], v3, v8, 0
	v_mul_hi_u32 v9, v3, v4
	v_add_co_u32_e32 v10, vcc, v9, v6
	v_addc_co_u32_e32 v11, vcc, 0, v7, vcc
	v_mad_u64_u32 v[6:7], s[2:3], v5, v8, 0
	v_mad_u64_u32 v[8:9], s[2:3], v5, v4, 0
	v_add_co_u32_e32 v4, vcc, v10, v8
	v_addc_co_u32_e32 v4, vcc, v11, v9, vcc
	v_addc_co_u32_e32 v7, vcc, 0, v7, vcc
	v_add_co_u32_e32 v10, vcc, v4, v6
	v_addc_co_u32_e32 v11, vcc, 0, v7, vcc
	v_mad_u64_u32 v[6:7], s[2:3], s12, v10, 0
	v_mov_b32_e32 v4, v7
	v_mad_u64_u32 v[8:9], s[2:3], s12, v11, v[4:5]
	v_sub_co_u32_e32 v3, vcc, v3, v6
	v_subb_co_u32_e32 v4, vcc, v5, v8, vcc
	v_subrev_co_u32_e32 v5, vcc, s12, v3
	v_subbrev_co_u32_e32 v6, vcc, 0, v4, vcc
	v_cmp_le_u32_e32 vcc, s12, v5
	v_cndmask_b32_e64 v5, 0, -1, vcc
	v_cmp_eq_u32_e32 vcc, 0, v6
	v_cndmask_b32_e32 v5, -1, v5, vcc
	v_add_co_u32_e32 v6, vcc, 2, v10
	v_addc_co_u32_e32 v7, vcc, 0, v11, vcc
	v_add_co_u32_e32 v8, vcc, 1, v10
	v_cmp_le_u32_e64 s[2:3], s12, v3
	v_addc_co_u32_e32 v9, vcc, 0, v11, vcc
	v_cndmask_b32_e64 v3, 0, -1, s[2:3]
	v_cmp_eq_u32_e64 s[2:3], 0, v4
	v_cmp_ne_u32_e32 vcc, 0, v5
	v_cndmask_b32_e64 v3, -1, v3, s[2:3]
	v_cndmask_b32_e32 v5, v9, v7, vcc
	v_cmp_ne_u32_e64 s[2:3], 0, v3
	v_cndmask_b32_e32 v3, v8, v6, vcc
	v_cndmask_b32_e64 v7, v11, v5, s[2:3]
	v_cndmask_b32_e64 v6, v10, v3, s[2:3]
                                        ; implicit-def: $vgpr3
.LBB50_5:
	s_andn2_saveexec_b64 s[2:3], s[10:11]
	s_cbranch_execz .LBB50_7
; %bb.6:
	v_cvt_f32_u32_e32 v4, s12
	s_sub_i32 s10, 0, s12
	v_mov_b32_e32 v7, 0
	v_rcp_iflag_f32_e32 v4, v4
	v_mul_f32_e32 v4, 0x4f7ffffe, v4
	v_cvt_u32_f32_e32 v4, v4
	v_mul_lo_u32 v5, s10, v4
	v_mul_hi_u32 v5, v4, v5
	v_add_u32_e32 v4, v4, v5
	v_mul_hi_u32 v4, v3, v4
	v_mul_lo_u32 v5, v4, s12
	v_sub_u32_e32 v3, v3, v5
	v_add_u32_e32 v6, 1, v4
	v_subrev_u32_e32 v5, s12, v3
	v_cmp_le_u32_e32 vcc, s12, v3
	v_cndmask_b32_e32 v3, v3, v5, vcc
	v_cndmask_b32_e32 v4, v4, v6, vcc
	v_add_u32_e32 v5, 1, v4
	v_cmp_le_u32_e32 vcc, s12, v3
	v_cndmask_b32_e32 v6, v4, v5, vcc
.LBB50_7:
	s_or_b64 exec, exec, s[2:3]
	v_add_co_u32_e32 v2, vcc, v6, v2
	v_addc_co_u32_e32 v3, vcc, 0, v7, vcc
	v_add_co_u32_e32 v4, vcc, 1, v2
	v_addc_co_u32_e32 v5, vcc, 0, v3, vcc
	v_cmp_lt_u64_e32 vcc, 1, v[4:5]
	v_cmp_eq_u16_e64 s[2:3], s7, 1
	s_and_b64 s[24:25], vcc, s[2:3]
	s_mov_b64 s[10:11], -1
	v_pk_mov_b32 v[2:3], v[0:1], v[0:1] op_sel:[0,1]
                                        ; implicit-def: $sgpr14
	s_and_saveexec_b64 s[2:3], s[24:25]
	s_cbranch_execz .LBB50_11
; %bb.8:
	v_and_b32_e32 v6, -2, v4
	v_mov_b32_e32 v7, v5
	v_lshl_add_u32 v8, v0, 2, 0
	s_mov_b64 s[10:11], 0
	v_mov_b32_e32 v9, 0
	v_pk_mov_b32 v[2:3], v[6:7], v[6:7] op_sel:[0,1]
.LBB50_9:                               ; =>This Inner Loop Header: Depth=1
	v_add_co_u32_e32 v2, vcc, -2, v2
	v_addc_co_u32_e32 v3, vcc, -1, v3, vcc
	v_cmp_eq_u64_e32 vcc, 0, v[2:3]
	ds_write2_b32 v8, v9, v9 offset1:1
	s_or_b64 s[10:11], vcc, s[10:11]
	v_add_u32_e32 v8, 8, v8
	s_andn2_b64 exec, exec, s[10:11]
	s_cbranch_execnz .LBB50_9
; %bb.10:
	s_or_b64 exec, exec, s[10:11]
	v_mad_u64_u32 v[2:3], s[10:11], v6, s12, v[0:1]
	v_mov_b32_e32 v8, v3
	v_mad_u64_u32 v[8:9], s[10:11], v7, s12, v[8:9]
	v_cmp_ne_u64_e32 vcc, v[4:5], v[6:7]
	v_mov_b32_e32 v3, v8
	s_mov_b32 s14, 1
	s_orn2_b64 s[10:11], vcc, exec
.LBB50_11:
	s_or_b64 exec, exec, s[2:3]
	v_mov_b32_e32 v4, s14
	s_and_saveexec_b64 s[2:3], s[10:11]
	s_cbranch_execz .LBB50_15
; %bb.12:
	v_lshl_add_u32 v4, v2, 2, 0
	s_lshl_b32 s14, s12, 2
	s_mov_b64 s[10:11], 0
	v_mov_b32_e32 v5, 0
	v_mov_b32_e32 v6, s13
.LBB50_13:                              ; =>This Inner Loop Header: Depth=1
	v_add_co_u32_e32 v2, vcc, s12, v2
	v_addc_co_u32_e32 v3, vcc, v3, v6, vcc
	v_cmp_le_i64_e32 vcc, s[18:19], v[2:3]
	ds_write_b32 v4, v5
	s_or_b64 s[10:11], vcc, s[10:11]
	v_add_u32_e32 v4, s14, v4
	s_andn2_b64 exec, exec, s[10:11]
	s_cbranch_execnz .LBB50_13
; %bb.14:
	s_or_b64 exec, exec, s[10:11]
	v_mov_b32_e32 v4, s7
.LBB50_15:
	s_or_b64 exec, exec, s[2:3]
.LBB50_16:
	s_or_b64 exec, exec, s[8:9]
	s_load_dwordx8 s[8:15], s[4:5], 0x4e0
	v_and_b32_e32 v2, 0xffff, v4
	v_mad_u64_u32 v[4:5], s[2:3], s6, v2, v[0:1]
	v_mov_b32_e32 v6, 0
	v_mov_b32_e32 v5, v6
	s_waitcnt lgkmcnt(0)
	v_cmp_gt_i64_e32 vcc, s[14:15], v[4:5]
	s_barrier
	s_waitcnt lgkmcnt(0)
                                        ; kill: def $vgpr3 killed $sgpr0 killed $exec
	s_and_saveexec_b64 s[6:7], vcc
	s_cbranch_execz .LBB50_32
; %bb.17:
	s_load_dword s26, s[4:5], 0x4d8
	s_add_u32 s27, s4, 0x340
	s_addc_u32 s29, s5, 0
	s_load_dword s28, s[22:23], 0x0
	s_load_dwordx2 s[24:25], s[4:5], 0x340
	s_waitcnt lgkmcnt(0)
	v_mul_lo_u32 v8, s28, v2
	s_load_dwordx2 s[22:23], s[4:5], 0x410
	s_cmp_gt_i32 s26, 1
	s_cselect_b64 s[2:3], -1, 0
	s_sub_u32 s33, s12, s10
	s_subb_u32 s42, s13, s11
	s_mov_b32 s5, 0
	s_add_i32 s4, s26, -1
	s_add_i32 s43, s26, 1
	s_lshl_b64 s[4:5], s[4:5], 3
	s_add_u32 s4, s4, s27
	s_addc_u32 s5, s5, s29
	s_add_u32 s26, s4, 8
	v_cndmask_b32_e64 v3, 0, 1, s[2:3]
	s_addc_u32 s27, s5, 0
	s_mov_b64 s[28:29], 0
	v_cmp_ne_u32_e64 s[2:3], 1, v3
	v_mov_b32_e32 v3, 1.0
	s_branch .LBB50_20
.LBB50_18:                              ;   in Loop: Header=BB50_20 Depth=1
	s_or_b64 exec, exec, s[4:5]
	v_ashrrev_i32_e32 v13, 31, v12
	v_cmp_eq_u64_e32 vcc, s[8:9], v[12:13]
	v_subbrev_co_u32_e32 v7, vcc, 0, v12, vcc
	v_lshl_add_u32 v7, v7, 2, 0
	ds_add_f32 v7, v3
	s_waitcnt lgkmcnt(0)
.LBB50_19:                              ;   in Loop: Header=BB50_20 Depth=1
	s_or_b64 exec, exec, s[30:31]
	v_add_co_u32_e32 v4, vcc, v4, v8
	v_addc_co_u32_e32 v5, vcc, 0, v5, vcc
	v_cmp_le_i64_e32 vcc, s[14:15], v[4:5]
	s_or_b64 s[28:29], vcc, s[28:29]
	s_andn2_b64 exec, exec, s[28:29]
	s_cbranch_execz .LBB50_32
.LBB50_20:                              ; =>This Loop Header: Depth=1
                                        ;     Child Loop BB50_21 Depth 2
	s_and_b64 vcc, exec, s[2:3]
	v_pk_mov_b32 v[10:11], 0, 0
	s_mov_b64 s[30:31], s[26:27]
	s_mov_b32 s44, s43
	v_pk_mov_b32 v[12:13], v[4:5], v[4:5] op_sel:[0,1]
	v_pk_mov_b32 v[14:15], v[4:5], v[4:5] op_sel:[0,1]
	s_cbranch_vccnz .LBB50_27
.LBB50_21:                              ;   Parent Loop BB50_20 Depth=1
                                        ; =>  This Inner Loop Header: Depth=2
	s_load_dwordx2 s[34:35], s[30:31], 0x0
                                        ; implicit-def: $vgpr14_vgpr15
	s_waitcnt lgkmcnt(0)
	v_or_b32_e32 v7, s35, v13
	v_cmp_ne_u64_e32 vcc, 0, v[6:7]
	s_and_saveexec_b64 s[4:5], vcc
	s_xor_b64 s[36:37], exec, s[4:5]
	s_cbranch_execz .LBB50_23
; %bb.22:                               ;   in Loop: Header=BB50_21 Depth=2
	s_ashr_i32 s38, s35, 31
	s_add_u32 s4, s34, s38
	s_mov_b32 s39, s38
	s_addc_u32 s5, s35, s38
	s_xor_b64 s[40:41], s[4:5], s[38:39]
	v_cvt_f32_u32_e32 v7, s40
	v_cvt_f32_u32_e32 v9, s41
	s_sub_u32 s4, 0, s40
	s_subb_u32 s5, 0, s41
	v_mac_f32_e32 v7, 0x4f800000, v9
	v_rcp_f32_e32 v7, v7
	v_mul_f32_e32 v7, 0x5f7ffffc, v7
	v_mul_f32_e32 v9, 0x2f800000, v7
	v_trunc_f32_e32 v9, v9
	v_mac_f32_e32 v7, 0xcf800000, v9
	v_cvt_u32_f32_e32 v9, v9
	v_cvt_u32_f32_e32 v7, v7
	v_mul_lo_u32 v14, s4, v9
	v_mul_hi_u32 v16, s4, v7
	v_mul_lo_u32 v15, s5, v7
	v_add_u32_e32 v14, v16, v14
	v_mul_lo_u32 v17, s4, v7
	v_add_u32_e32 v14, v14, v15
	v_mul_lo_u32 v16, v7, v14
	v_mul_hi_u32 v18, v7, v17
	v_mul_hi_u32 v15, v7, v14
	v_add_co_u32_e32 v16, vcc, v18, v16
	v_addc_co_u32_e32 v15, vcc, 0, v15, vcc
	v_mul_hi_u32 v19, v9, v17
	v_mul_lo_u32 v17, v9, v17
	v_add_co_u32_e32 v16, vcc, v16, v17
	v_mul_hi_u32 v18, v9, v14
	v_addc_co_u32_e32 v15, vcc, v15, v19, vcc
	v_addc_co_u32_e32 v16, vcc, 0, v18, vcc
	v_mul_lo_u32 v14, v9, v14
	v_add_co_u32_e32 v14, vcc, v15, v14
	v_addc_co_u32_e32 v15, vcc, 0, v16, vcc
	v_add_co_u32_e32 v7, vcc, v7, v14
	v_addc_co_u32_e32 v9, vcc, v9, v15, vcc
	v_mul_lo_u32 v14, s4, v9
	v_mul_hi_u32 v15, s4, v7
	v_add_u32_e32 v14, v15, v14
	v_mul_lo_u32 v15, s5, v7
	v_add_u32_e32 v14, v14, v15
	v_mul_lo_u32 v16, s4, v7
	v_mul_hi_u32 v17, v9, v16
	v_mul_lo_u32 v18, v9, v16
	v_mul_lo_u32 v20, v7, v14
	v_mul_hi_u32 v16, v7, v16
	v_mul_hi_u32 v19, v7, v14
	v_add_co_u32_e32 v16, vcc, v16, v20
	v_addc_co_u32_e32 v19, vcc, 0, v19, vcc
	v_add_co_u32_e32 v16, vcc, v16, v18
	v_mul_hi_u32 v15, v9, v14
	v_addc_co_u32_e32 v16, vcc, v19, v17, vcc
	v_addc_co_u32_e32 v15, vcc, 0, v15, vcc
	v_mul_lo_u32 v14, v9, v14
	v_add_co_u32_e32 v14, vcc, v16, v14
	v_addc_co_u32_e32 v15, vcc, 0, v15, vcc
	v_add_co_u32_e32 v7, vcc, v7, v14
	v_addc_co_u32_e32 v9, vcc, v9, v15, vcc
	v_ashrrev_i32_e32 v18, 31, v13
	v_add_co_u32_e32 v14, vcc, v12, v18
	v_addc_co_u32_e32 v15, vcc, v13, v18, vcc
	v_xor_b32_e32 v20, v14, v18
	v_xor_b32_e32 v19, v15, v18
	v_mad_u64_u32 v[14:15], s[4:5], v20, v9, 0
	v_mul_hi_u32 v16, v20, v7
	v_add_co_u32_e32 v21, vcc, v16, v14
	v_addc_co_u32_e32 v22, vcc, 0, v15, vcc
	v_mad_u64_u32 v[16:17], s[4:5], v19, v7, 0
	v_add_co_u32_e32 v7, vcc, v21, v16
	v_mad_u64_u32 v[14:15], s[4:5], v19, v9, 0
	v_addc_co_u32_e32 v7, vcc, v22, v17, vcc
	v_addc_co_u32_e32 v9, vcc, 0, v15, vcc
	v_add_co_u32_e32 v7, vcc, v7, v14
	v_addc_co_u32_e32 v9, vcc, 0, v9, vcc
	v_mul_lo_u32 v16, s41, v7
	v_mul_lo_u32 v17, s40, v9
	v_mad_u64_u32 v[14:15], s[4:5], s40, v7, 0
	v_add3_u32 v15, v15, v17, v16
	v_sub_u32_e32 v16, v19, v15
	v_mov_b32_e32 v17, s41
	v_sub_co_u32_e32 v14, vcc, v20, v14
	v_subb_co_u32_e64 v16, s[4:5], v16, v17, vcc
	v_subrev_co_u32_e64 v17, s[4:5], s40, v14
	v_subbrev_co_u32_e64 v16, s[4:5], 0, v16, s[4:5]
	v_cmp_le_u32_e64 s[4:5], s41, v16
	v_cndmask_b32_e64 v20, 0, -1, s[4:5]
	v_cmp_le_u32_e64 s[4:5], s40, v17
	v_cndmask_b32_e64 v17, 0, -1, s[4:5]
	v_cmp_eq_u32_e64 s[4:5], s41, v16
	v_cndmask_b32_e64 v16, v20, v17, s[4:5]
	v_add_co_u32_e64 v17, s[4:5], 2, v7
	v_subb_co_u32_e32 v15, vcc, v19, v15, vcc
	v_addc_co_u32_e64 v20, s[4:5], 0, v9, s[4:5]
	v_cmp_le_u32_e32 vcc, s41, v15
	v_add_co_u32_e64 v21, s[4:5], 1, v7
	v_cndmask_b32_e64 v19, 0, -1, vcc
	v_cmp_le_u32_e32 vcc, s40, v14
	v_addc_co_u32_e64 v22, s[4:5], 0, v9, s[4:5]
	v_cndmask_b32_e64 v14, 0, -1, vcc
	v_cmp_eq_u32_e32 vcc, s41, v15
	v_cmp_ne_u32_e64 s[4:5], 0, v16
	v_cndmask_b32_e32 v14, v19, v14, vcc
	v_cmp_ne_u32_e32 vcc, 0, v14
	v_cndmask_b32_e64 v14, v21, v17, s[4:5]
	v_cndmask_b32_e64 v16, v22, v20, s[4:5]
	v_cndmask_b32_e32 v7, v7, v14, vcc
	v_xor_b32_e32 v15, s38, v18
	v_cndmask_b32_e32 v9, v9, v16, vcc
	v_xor_b32_e32 v7, v7, v15
	v_xor_b32_e32 v9, v9, v15
	v_sub_co_u32_e32 v14, vcc, v7, v15
	v_subb_co_u32_e32 v15, vcc, v9, v15, vcc
.LBB50_23:                              ;   in Loop: Header=BB50_21 Depth=2
	s_andn2_saveexec_b64 s[4:5], s[36:37]
	s_cbranch_execz .LBB50_25
; %bb.24:                               ;   in Loop: Header=BB50_21 Depth=2
	v_cvt_f32_u32_e32 v7, s34
	s_sub_i32 s36, 0, s34
	v_rcp_iflag_f32_e32 v7, v7
	v_mul_f32_e32 v7, 0x4f7ffffe, v7
	v_cvt_u32_f32_e32 v7, v7
	v_mul_lo_u32 v9, s36, v7
	v_mul_hi_u32 v9, v7, v9
	v_add_u32_e32 v7, v7, v9
	v_mul_hi_u32 v7, v12, v7
	v_mul_lo_u32 v9, v7, s34
	v_sub_u32_e32 v9, v12, v9
	v_add_u32_e32 v14, 1, v7
	v_subrev_u32_e32 v15, s34, v9
	v_cmp_le_u32_e32 vcc, s34, v9
	v_cndmask_b32_e32 v9, v9, v15, vcc
	v_cndmask_b32_e32 v7, v7, v14, vcc
	v_add_u32_e32 v14, 1, v7
	v_cmp_le_u32_e32 vcc, s34, v9
	v_cndmask_b32_e32 v14, v7, v14, vcc
	v_mov_b32_e32 v15, v6
.LBB50_25:                              ;   in Loop: Header=BB50_21 Depth=2
	s_or_b64 exec, exec, s[4:5]
	v_mad_u64_u32 v[16:17], s[4:5], v14, s34, 0
	s_load_dwordx2 s[4:5], s[30:31], 0xc8
	v_mul_lo_u32 v7, v15, s34
	v_mul_lo_u32 v9, v14, s35
	v_add3_u32 v7, v17, v9, v7
	v_sub_co_u32_e32 v9, vcc, v12, v16
	s_add_i32 s44, s44, -1
	v_subb_co_u32_e32 v7, vcc, v13, v7, vcc
	s_add_u32 s30, s30, -8
	s_waitcnt lgkmcnt(0)
	v_mul_lo_u32 v7, s4, v7
	v_mul_lo_u32 v12, s5, v9
	v_mad_u64_u32 v[10:11], s[4:5], s4, v9, v[10:11]
	s_addc_u32 s31, s31, -1
	s_cmp_gt_u32 s44, 2
	v_add3_u32 v11, v12, v11, v7
	s_cbranch_scc0 .LBB50_27
; %bb.26:                               ;   in Loop: Header=BB50_21 Depth=2
	v_pk_mov_b32 v[12:13], v[14:15], v[14:15] op_sel:[0,1]
	s_branch .LBB50_21
.LBB50_27:                              ;   in Loop: Header=BB50_20 Depth=1
	s_waitcnt lgkmcnt(0)
	v_mul_lo_u32 v7, s23, v14
	v_mul_lo_u32 v9, s22, v15
	v_mad_u64_u32 v[12:13], s[4:5], s22, v14, 0
	v_add3_u32 v13, v13, v9, v7
	v_lshlrev_b64 v[12:13], 1, v[12:13]
	v_mov_b32_e32 v7, s25
	v_add_co_u32_e32 v9, vcc, s24, v12
	v_addc_co_u32_e32 v7, vcc, v7, v13, vcc
	v_lshlrev_b64 v[10:11], 1, v[10:11]
	v_add_co_u32_e32 v10, vcc, v9, v10
	v_addc_co_u32_e32 v11, vcc, v7, v11, vcc
	global_load_ushort v7, v[10:11], off
	s_waitcnt vmcnt(0)
	v_bfe_i32 v10, v7, 0, 16
	v_ashrrev_i32_e32 v11, 31, v10
	v_cmp_le_i64_e32 vcc, s[10:11], v[10:11]
	v_cmp_ge_i64_e64 s[4:5], s[12:13], v[10:11]
	s_and_b64 s[4:5], vcc, s[4:5]
	s_and_saveexec_b64 s[30:31], s[4:5]
	s_cbranch_execz .LBB50_19
; %bb.28:                               ;   in Loop: Header=BB50_20 Depth=1
	v_mov_b32_e32 v7, s11
	v_subrev_co_u32_e32 v9, vcc, s10, v10
	v_subb_co_u32_e32 v7, vcc, v11, v7, vcc
	v_mul_lo_u32 v7, v7, s8
	v_mul_lo_u32 v12, v9, s9
	v_mad_u64_u32 v[10:11], s[4:5], v9, s8, 0
	v_add3_u32 v11, v11, v12, v7
	v_or_b32_e32 v7, s42, v11
	v_cmp_ne_u64_e32 vcc, 0, v[6:7]
                                        ; implicit-def: $vgpr12_vgpr13
	s_and_saveexec_b64 s[4:5], vcc
	s_xor_b64 s[34:35], exec, s[4:5]
	s_cbranch_execz .LBB50_30
; %bb.29:                               ;   in Loop: Header=BB50_20 Depth=1
	s_ashr_i32 s36, s42, 31
	s_add_u32 s4, s33, s36
	s_mov_b32 s37, s36
	s_addc_u32 s5, s42, s36
	s_xor_b64 s[38:39], s[4:5], s[36:37]
	v_cvt_f32_u32_e32 v7, s38
	v_cvt_f32_u32_e32 v9, s39
	s_sub_u32 s4, 0, s38
	s_subb_u32 s5, 0, s39
	v_mac_f32_e32 v7, 0x4f800000, v9
	v_rcp_f32_e32 v7, v7
	v_mul_f32_e32 v7, 0x5f7ffffc, v7
	v_mul_f32_e32 v9, 0x2f800000, v7
	v_trunc_f32_e32 v9, v9
	v_mac_f32_e32 v7, 0xcf800000, v9
	v_cvt_u32_f32_e32 v9, v9
	v_cvt_u32_f32_e32 v7, v7
	v_mul_lo_u32 v12, s4, v9
	v_mul_hi_u32 v14, s4, v7
	v_mul_lo_u32 v13, s5, v7
	v_add_u32_e32 v12, v14, v12
	v_mul_lo_u32 v15, s4, v7
	v_add_u32_e32 v12, v12, v13
	v_mul_lo_u32 v14, v7, v12
	v_mul_hi_u32 v16, v7, v15
	v_mul_hi_u32 v13, v7, v12
	v_add_co_u32_e32 v14, vcc, v16, v14
	v_addc_co_u32_e32 v13, vcc, 0, v13, vcc
	v_mul_hi_u32 v17, v9, v15
	v_mul_lo_u32 v15, v9, v15
	v_add_co_u32_e32 v14, vcc, v14, v15
	v_mul_hi_u32 v16, v9, v12
	v_addc_co_u32_e32 v13, vcc, v13, v17, vcc
	v_addc_co_u32_e32 v14, vcc, 0, v16, vcc
	v_mul_lo_u32 v12, v9, v12
	v_add_co_u32_e32 v12, vcc, v13, v12
	v_addc_co_u32_e32 v13, vcc, 0, v14, vcc
	v_add_co_u32_e32 v7, vcc, v7, v12
	v_addc_co_u32_e32 v9, vcc, v9, v13, vcc
	v_mul_lo_u32 v12, s4, v9
	v_mul_hi_u32 v13, s4, v7
	v_add_u32_e32 v12, v13, v12
	v_mul_lo_u32 v13, s5, v7
	v_add_u32_e32 v12, v12, v13
	v_mul_lo_u32 v14, s4, v7
	v_mul_hi_u32 v15, v9, v14
	v_mul_lo_u32 v16, v9, v14
	v_mul_lo_u32 v18, v7, v12
	v_mul_hi_u32 v14, v7, v14
	v_mul_hi_u32 v17, v7, v12
	v_add_co_u32_e32 v14, vcc, v14, v18
	v_addc_co_u32_e32 v17, vcc, 0, v17, vcc
	v_add_co_u32_e32 v14, vcc, v14, v16
	v_mul_hi_u32 v13, v9, v12
	v_addc_co_u32_e32 v14, vcc, v17, v15, vcc
	v_addc_co_u32_e32 v13, vcc, 0, v13, vcc
	v_mul_lo_u32 v12, v9, v12
	v_add_co_u32_e32 v12, vcc, v14, v12
	v_addc_co_u32_e32 v13, vcc, 0, v13, vcc
	v_add_co_u32_e32 v7, vcc, v7, v12
	v_addc_co_u32_e32 v9, vcc, v9, v13, vcc
	v_ashrrev_i32_e32 v14, 31, v11
	v_add_co_u32_e32 v10, vcc, v10, v14
	v_addc_co_u32_e32 v11, vcc, v11, v14, vcc
	v_xor_b32_e32 v16, v10, v14
	v_xor_b32_e32 v15, v11, v14
	v_mad_u64_u32 v[10:11], s[4:5], v16, v9, 0
	v_mul_hi_u32 v12, v16, v7
	v_add_co_u32_e32 v17, vcc, v12, v10
	v_addc_co_u32_e32 v18, vcc, 0, v11, vcc
	v_mad_u64_u32 v[12:13], s[4:5], v15, v7, 0
	v_add_co_u32_e32 v7, vcc, v17, v12
	v_mad_u64_u32 v[10:11], s[4:5], v15, v9, 0
	v_addc_co_u32_e32 v7, vcc, v18, v13, vcc
	v_addc_co_u32_e32 v9, vcc, 0, v11, vcc
	v_add_co_u32_e32 v7, vcc, v7, v10
	v_addc_co_u32_e32 v9, vcc, 0, v9, vcc
	v_mul_lo_u32 v12, s39, v7
	v_mul_lo_u32 v9, s38, v9
	v_mad_u64_u32 v[10:11], s[4:5], s38, v7, 0
	v_add3_u32 v9, v11, v9, v12
	v_sub_u32_e32 v11, v15, v9
	v_mov_b32_e32 v12, s39
	v_sub_co_u32_e32 v10, vcc, v16, v10
	v_subb_co_u32_e64 v11, s[4:5], v11, v12, vcc
	v_subrev_co_u32_e64 v12, s[4:5], s38, v10
	v_subbrev_co_u32_e64 v11, s[4:5], 0, v11, s[4:5]
	v_cmp_le_u32_e64 s[4:5], s39, v11
	v_subb_co_u32_e32 v9, vcc, v15, v9, vcc
	v_cndmask_b32_e64 v13, 0, -1, s[4:5]
	v_cmp_le_u32_e64 s[4:5], s38, v12
	v_cmp_le_u32_e32 vcc, s39, v9
	v_cndmask_b32_e64 v12, 0, -1, s[4:5]
	v_cmp_eq_u32_e64 s[4:5], s39, v11
	v_cndmask_b32_e64 v15, 0, -1, vcc
	v_cmp_le_u32_e32 vcc, s38, v10
	v_cndmask_b32_e64 v11, v13, v12, s[4:5]
	v_cndmask_b32_e64 v10, 0, -1, vcc
	v_cmp_eq_u32_e32 vcc, s39, v9
	v_add_co_u32_e64 v12, s[4:5], 2, v7
	v_add_co_u32_e64 v13, s[4:5], 1, v7
	v_cndmask_b32_e32 v9, v15, v10, vcc
	v_cmp_ne_u32_e32 vcc, 0, v11
	v_cndmask_b32_e32 v10, v13, v12, vcc
	v_cmp_ne_u32_e32 vcc, 0, v9
	v_cndmask_b32_e32 v7, v7, v10, vcc
	v_xor_b32_e32 v9, s36, v14
	v_xor_b32_e32 v7, v7, v9
	v_sub_co_u32_e32 v12, vcc, v7, v9
                                        ; implicit-def: $vgpr10_vgpr11
.LBB50_30:                              ;   in Loop: Header=BB50_20 Depth=1
	s_andn2_saveexec_b64 s[4:5], s[34:35]
	s_cbranch_execz .LBB50_18
; %bb.31:                               ;   in Loop: Header=BB50_20 Depth=1
	v_cvt_f32_u32_e32 v7, s33
	s_sub_i32 s34, 0, s33
	v_rcp_iflag_f32_e32 v7, v7
	v_mul_f32_e32 v7, 0x4f7ffffe, v7
	v_cvt_u32_f32_e32 v7, v7
	v_mul_lo_u32 v9, s34, v7
	v_mul_hi_u32 v9, v7, v9
	v_add_u32_e32 v7, v7, v9
	v_mul_hi_u32 v7, v10, v7
	v_mul_lo_u32 v9, v7, s33
	v_sub_u32_e32 v9, v10, v9
	v_add_u32_e32 v11, 1, v7
	v_subrev_u32_e32 v10, s33, v9
	v_cmp_le_u32_e32 vcc, s33, v9
	v_cndmask_b32_e32 v9, v9, v10, vcc
	v_cndmask_b32_e32 v7, v7, v11, vcc
	v_add_u32_e32 v10, 1, v7
	v_cmp_le_u32_e32 vcc, s33, v9
	v_cndmask_b32_e32 v12, v7, v10, vcc
	s_branch .LBB50_18
.LBB50_32:
	s_or_b64 exec, exec, s[6:7]
; %bb.33:
	s_barrier
	s_and_saveexec_b64 s[2:3], s[0:1]
	s_cbranch_execz .LBB50_36
; %bb.34:
	v_mad_u64_u32 v[4:5], s[0:1], s20, v0, 0
	v_mov_b32_e32 v6, v5
	v_mad_u64_u32 v[6:7], s[0:1], s21, v0, v[6:7]
	v_mov_b32_e32 v5, v6
	;; [unrolled: 2-line block ×3, first 2 shown]
	v_lshlrev_b64 v[4:5], 2, v[4:5]
	v_mad_u64_u32 v[8:9], s[0:1], s21, v2, v[8:9]
	v_mov_b32_e32 v3, s17
	v_add_co_u32_e32 v4, vcc, s16, v4
	v_mov_b32_e32 v7, v8
	v_addc_co_u32_e32 v5, vcc, v3, v5, vcc
	v_lshlrev_b64 v[6:7], 2, v[6:7]
	v_lshl_add_u32 v3, v0, 2, 0
	v_lshlrev_b32_e32 v8, 2, v2
	s_mov_b64 s[0:1], 0
.LBB50_35:                              ; =>This Inner Loop Header: Depth=1
	ds_read_b32 v9, v3
	v_add_co_u32_e32 v0, vcc, v0, v2
	v_addc_co_u32_e32 v1, vcc, 0, v1, vcc
	s_waitcnt lgkmcnt(0)
	global_atomic_add_f32 v[4:5], v9, off
	v_cmp_le_i64_e32 vcc, s[18:19], v[0:1]
	s_or_b64 s[0:1], vcc, s[0:1]
	v_add_co_u32_e32 v4, vcc, v4, v6
	v_add_u32_e32 v3, v3, v8
	v_addc_co_u32_e32 v5, vcc, v5, v7, vcc
	s_andn2_b64 exec, exec, s[0:1]
	s_cbranch_execnz .LBB50_35
.LBB50_36:
	s_endpgm
	.section	.rodata,"a",@progbits
	.p2align	6, 0x0
	.amdhsa_kernel _ZN2at4cuda17kernelHistogram1DIfslLi1ELi2ELin1ELNS0_23CUDAHistogramMemoryTypeE0EZNS0_21CUDA_tensor_histogramIfsLb1EEEbNS_6TensorES4_S4_lNS_14AccumulateTypeIT0_Lb1EE4typeES8_NS0_13TensorArgTypeES9_S9_EUllE0_EEvNS0_6detail10TensorInfoIT_T1_EESF_NSC_IKS6_SE_EElS8_S8_SE_T6_
		.amdhsa_group_segment_fixed_size 0
		.amdhsa_private_segment_fixed_size 0
		.amdhsa_kernarg_size 1544
		.amdhsa_user_sgpr_count 6
		.amdhsa_user_sgpr_private_segment_buffer 1
		.amdhsa_user_sgpr_dispatch_ptr 0
		.amdhsa_user_sgpr_queue_ptr 0
		.amdhsa_user_sgpr_kernarg_segment_ptr 1
		.amdhsa_user_sgpr_dispatch_id 0
		.amdhsa_user_sgpr_flat_scratch_init 0
		.amdhsa_user_sgpr_kernarg_preload_length 0
		.amdhsa_user_sgpr_kernarg_preload_offset 0
		.amdhsa_user_sgpr_private_segment_size 0
		.amdhsa_uses_dynamic_stack 0
		.amdhsa_system_sgpr_private_segment_wavefront_offset 0
		.amdhsa_system_sgpr_workgroup_id_x 1
		.amdhsa_system_sgpr_workgroup_id_y 0
		.amdhsa_system_sgpr_workgroup_id_z 0
		.amdhsa_system_sgpr_workgroup_info 0
		.amdhsa_system_vgpr_workitem_id 0
		.amdhsa_next_free_vgpr 23
		.amdhsa_next_free_sgpr 45
		.amdhsa_accum_offset 24
		.amdhsa_reserve_vcc 1
		.amdhsa_reserve_flat_scratch 0
		.amdhsa_float_round_mode_32 0
		.amdhsa_float_round_mode_16_64 0
		.amdhsa_float_denorm_mode_32 3
		.amdhsa_float_denorm_mode_16_64 3
		.amdhsa_dx10_clamp 1
		.amdhsa_ieee_mode 1
		.amdhsa_fp16_overflow 0
		.amdhsa_tg_split 0
		.amdhsa_exception_fp_ieee_invalid_op 0
		.amdhsa_exception_fp_denorm_src 0
		.amdhsa_exception_fp_ieee_div_zero 0
		.amdhsa_exception_fp_ieee_overflow 0
		.amdhsa_exception_fp_ieee_underflow 0
		.amdhsa_exception_fp_ieee_inexact 0
		.amdhsa_exception_int_div_zero 0
	.end_amdhsa_kernel
	.section	.text._ZN2at4cuda17kernelHistogram1DIfslLi1ELi2ELin1ELNS0_23CUDAHistogramMemoryTypeE0EZNS0_21CUDA_tensor_histogramIfsLb1EEEbNS_6TensorES4_S4_lNS_14AccumulateTypeIT0_Lb1EE4typeES8_NS0_13TensorArgTypeES9_S9_EUllE0_EEvNS0_6detail10TensorInfoIT_T1_EESF_NSC_IKS6_SE_EElS8_S8_SE_T6_,"axG",@progbits,_ZN2at4cuda17kernelHistogram1DIfslLi1ELi2ELin1ELNS0_23CUDAHistogramMemoryTypeE0EZNS0_21CUDA_tensor_histogramIfsLb1EEEbNS_6TensorES4_S4_lNS_14AccumulateTypeIT0_Lb1EE4typeES8_NS0_13TensorArgTypeES9_S9_EUllE0_EEvNS0_6detail10TensorInfoIT_T1_EESF_NSC_IKS6_SE_EElS8_S8_SE_T6_,comdat
.Lfunc_end50:
	.size	_ZN2at4cuda17kernelHistogram1DIfslLi1ELi2ELin1ELNS0_23CUDAHistogramMemoryTypeE0EZNS0_21CUDA_tensor_histogramIfsLb1EEEbNS_6TensorES4_S4_lNS_14AccumulateTypeIT0_Lb1EE4typeES8_NS0_13TensorArgTypeES9_S9_EUllE0_EEvNS0_6detail10TensorInfoIT_T1_EESF_NSC_IKS6_SE_EElS8_S8_SE_T6_, .Lfunc_end50-_ZN2at4cuda17kernelHistogram1DIfslLi1ELi2ELin1ELNS0_23CUDAHistogramMemoryTypeE0EZNS0_21CUDA_tensor_histogramIfsLb1EEEbNS_6TensorES4_S4_lNS_14AccumulateTypeIT0_Lb1EE4typeES8_NS0_13TensorArgTypeES9_S9_EUllE0_EEvNS0_6detail10TensorInfoIT_T1_EESF_NSC_IKS6_SE_EElS8_S8_SE_T6_
                                        ; -- End function
	.section	.AMDGPU.csdata,"",@progbits
; Kernel info:
; codeLenInByte = 3388
; NumSgprs: 49
; NumVgprs: 23
; NumAgprs: 0
; TotalNumVgprs: 23
; ScratchSize: 0
; MemoryBound: 0
; FloatMode: 240
; IeeeMode: 1
; LDSByteSize: 0 bytes/workgroup (compile time only)
; SGPRBlocks: 6
; VGPRBlocks: 2
; NumSGPRsForWavesPerEU: 49
; NumVGPRsForWavesPerEU: 23
; AccumOffset: 24
; Occupancy: 8
; WaveLimiterHint : 1
; COMPUTE_PGM_RSRC2:SCRATCH_EN: 0
; COMPUTE_PGM_RSRC2:USER_SGPR: 6
; COMPUTE_PGM_RSRC2:TRAP_HANDLER: 0
; COMPUTE_PGM_RSRC2:TGID_X_EN: 1
; COMPUTE_PGM_RSRC2:TGID_Y_EN: 0
; COMPUTE_PGM_RSRC2:TGID_Z_EN: 0
; COMPUTE_PGM_RSRC2:TIDIG_COMP_CNT: 0
; COMPUTE_PGM_RSRC3_GFX90A:ACCUM_OFFSET: 5
; COMPUTE_PGM_RSRC3_GFX90A:TG_SPLIT: 0
	.section	.text._ZN2at4cuda17kernelHistogram1DIfslLi1ELi2ELin1ELNS0_23CUDAHistogramMemoryTypeE1EZNS0_21CUDA_tensor_histogramIfsLb1EEEbNS_6TensorES4_S4_lNS_14AccumulateTypeIT0_Lb1EE4typeES8_NS0_13TensorArgTypeES9_S9_EUllE0_EEvNS0_6detail10TensorInfoIT_T1_EESF_NSC_IKS6_SE_EElS8_S8_SE_T6_,"axG",@progbits,_ZN2at4cuda17kernelHistogram1DIfslLi1ELi2ELin1ELNS0_23CUDAHistogramMemoryTypeE1EZNS0_21CUDA_tensor_histogramIfsLb1EEEbNS_6TensorES4_S4_lNS_14AccumulateTypeIT0_Lb1EE4typeES8_NS0_13TensorArgTypeES9_S9_EUllE0_EEvNS0_6detail10TensorInfoIT_T1_EESF_NSC_IKS6_SE_EElS8_S8_SE_T6_,comdat
	.protected	_ZN2at4cuda17kernelHistogram1DIfslLi1ELi2ELin1ELNS0_23CUDAHistogramMemoryTypeE1EZNS0_21CUDA_tensor_histogramIfsLb1EEEbNS_6TensorES4_S4_lNS_14AccumulateTypeIT0_Lb1EE4typeES8_NS0_13TensorArgTypeES9_S9_EUllE0_EEvNS0_6detail10TensorInfoIT_T1_EESF_NSC_IKS6_SE_EElS8_S8_SE_T6_ ; -- Begin function _ZN2at4cuda17kernelHistogram1DIfslLi1ELi2ELin1ELNS0_23CUDAHistogramMemoryTypeE1EZNS0_21CUDA_tensor_histogramIfsLb1EEEbNS_6TensorES4_S4_lNS_14AccumulateTypeIT0_Lb1EE4typeES8_NS0_13TensorArgTypeES9_S9_EUllE0_EEvNS0_6detail10TensorInfoIT_T1_EESF_NSC_IKS6_SE_EElS8_S8_SE_T6_
	.globl	_ZN2at4cuda17kernelHistogram1DIfslLi1ELi2ELin1ELNS0_23CUDAHistogramMemoryTypeE1EZNS0_21CUDA_tensor_histogramIfsLb1EEEbNS_6TensorES4_S4_lNS_14AccumulateTypeIT0_Lb1EE4typeES8_NS0_13TensorArgTypeES9_S9_EUllE0_EEvNS0_6detail10TensorInfoIT_T1_EESF_NSC_IKS6_SE_EElS8_S8_SE_T6_
	.p2align	8
	.type	_ZN2at4cuda17kernelHistogram1DIfslLi1ELi2ELin1ELNS0_23CUDAHistogramMemoryTypeE1EZNS0_21CUDA_tensor_histogramIfsLb1EEEbNS_6TensorES4_S4_lNS_14AccumulateTypeIT0_Lb1EE4typeES8_NS0_13TensorArgTypeES9_S9_EUllE0_EEvNS0_6detail10TensorInfoIT_T1_EESF_NSC_IKS6_SE_EElS8_S8_SE_T6_,@function
_ZN2at4cuda17kernelHistogram1DIfslLi1ELi2ELin1ELNS0_23CUDAHistogramMemoryTypeE1EZNS0_21CUDA_tensor_histogramIfsLb1EEEbNS_6TensorES4_S4_lNS_14AccumulateTypeIT0_Lb1EE4typeES8_NS0_13TensorArgTypeES9_S9_EUllE0_EEvNS0_6detail10TensorInfoIT_T1_EESF_NSC_IKS6_SE_EElS8_S8_SE_T6_: ; @_ZN2at4cuda17kernelHistogram1DIfslLi1ELi2ELin1ELNS0_23CUDAHistogramMemoryTypeE1EZNS0_21CUDA_tensor_histogramIfsLb1EEEbNS_6TensorES4_S4_lNS_14AccumulateTypeIT0_Lb1EE4typeES8_NS0_13TensorArgTypeES9_S9_EUllE0_EEvNS0_6detail10TensorInfoIT_T1_EESF_NSC_IKS6_SE_EElS8_S8_SE_T6_
; %bb.0:
	s_load_dword s2, s[4:5], 0x514
	s_load_dwordx8 s[8:15], s[4:5], 0x4e0
	s_add_u32 s0, s4, 0x508
	s_addc_u32 s1, s5, 0
	v_mov_b32_e32 v2, 0
	s_waitcnt lgkmcnt(0)
	s_and_b32 s2, s2, 0xffff
	s_mul_i32 s6, s6, s2
	v_add_u32_e32 v0, s6, v0
	v_mov_b32_e32 v1, v2
	v_cmp_gt_i64_e32 vcc, s[14:15], v[0:1]
	s_and_saveexec_b64 s[6:7], vcc
	s_cbranch_execz .LBB51_16
; %bb.1:
	s_load_dword s3, s[4:5], 0x4d8
	s_load_dwordx2 s[6:7], s[4:5], 0x0
	s_load_dwordx2 s[16:17], s[4:5], 0xd0
	s_load_dword s24, s[0:1], 0x0
	s_add_u32 s22, s4, 0x340
	s_addc_u32 s23, s5, 0
	s_mov_b32 s38, 0
	s_waitcnt lgkmcnt(0)
	s_cmp_gt_i32 s3, 1
	s_cselect_b64 s[0:1], -1, 0
	s_sub_u32 s33, s12, s10
	s_subb_u32 s36, s13, s11
	s_mul_i32 s37, s24, s2
	s_add_i32 s39, s3, 1
	s_add_i32 s2, s3, -1
	s_mov_b32 s3, s38
	s_load_dwordx2 s[18:19], s[4:5], 0x410
	s_load_dwordx2 s[20:21], s[4:5], 0x340
	s_lshl_b64 s[2:3], s[2:3], 3
	s_add_u32 s2, s2, s22
	s_addc_u32 s3, s3, s23
	s_add_u32 s4, s2, 8
	v_cndmask_b32_e64 v3, 0, 1, s[0:1]
	s_addc_u32 s5, s3, 0
	s_mov_b64 s[22:23], 0
	v_cmp_ne_u32_e64 s[0:1], 1, v3
	v_mov_b32_e32 v10, 1.0
	s_branch .LBB51_4
.LBB51_2:                               ;   in Loop: Header=BB51_4 Depth=1
	s_or_b64 exec, exec, s[2:3]
	v_ashrrev_i32_e32 v7, 31, v6
	v_cmp_eq_u64_e32 vcc, s[8:9], v[6:7]
	v_cndmask_b32_e64 v3, 0, 1, vcc
	v_sub_co_u32_e32 v3, vcc, v6, v3
	v_subbrev_co_u32_e32 v4, vcc, 0, v7, vcc
	v_mul_lo_u32 v6, v4, s16
	v_mul_lo_u32 v7, v3, s17
	v_mad_u64_u32 v[4:5], s[2:3], v3, s16, 0
	v_add3_u32 v5, v5, v7, v6
	v_lshlrev_b64 v[4:5], 2, v[4:5]
	v_mov_b32_e32 v3, s7
	v_add_co_u32_e32 v4, vcc, s6, v4
	v_addc_co_u32_e32 v5, vcc, v3, v5, vcc
	global_atomic_add_f32 v[4:5], v10, off
.LBB51_3:                               ;   in Loop: Header=BB51_4 Depth=1
	s_or_b64 exec, exec, s[24:25]
	v_mov_b32_e32 v3, s38
	v_add_co_u32_e32 v0, vcc, s37, v0
	v_addc_co_u32_e32 v1, vcc, v1, v3, vcc
	v_cmp_le_i64_e32 vcc, s[14:15], v[0:1]
	s_or_b64 s[22:23], vcc, s[22:23]
	s_andn2_b64 exec, exec, s[22:23]
	s_cbranch_execz .LBB51_16
.LBB51_4:                               ; =>This Loop Header: Depth=1
                                        ;     Child Loop BB51_5 Depth 2
	s_and_b64 vcc, exec, s[0:1]
	v_pk_mov_b32 v[4:5], 0, 0
	s_mov_b64 s[24:25], s[4:5]
	s_mov_b32 s40, s39
	v_pk_mov_b32 v[6:7], v[0:1], v[0:1] op_sel:[0,1]
	v_pk_mov_b32 v[8:9], v[0:1], v[0:1] op_sel:[0,1]
	s_cbranch_vccnz .LBB51_11
.LBB51_5:                               ;   Parent Loop BB51_4 Depth=1
                                        ; =>  This Inner Loop Header: Depth=2
	s_load_dwordx2 s[26:27], s[24:25], 0x0
                                        ; implicit-def: $vgpr8_vgpr9
	s_waitcnt lgkmcnt(0)
	v_or_b32_e32 v3, s27, v7
	v_cmp_ne_u64_e32 vcc, 0, v[2:3]
	s_and_saveexec_b64 s[2:3], vcc
	s_xor_b64 s[28:29], exec, s[2:3]
	s_cbranch_execz .LBB51_7
; %bb.6:                                ;   in Loop: Header=BB51_5 Depth=2
	s_ashr_i32 s30, s27, 31
	s_add_u32 s2, s26, s30
	s_mov_b32 s31, s30
	s_addc_u32 s3, s27, s30
	s_xor_b64 s[34:35], s[2:3], s[30:31]
	v_cvt_f32_u32_e32 v3, s34
	v_cvt_f32_u32_e32 v8, s35
	s_sub_u32 s2, 0, s34
	s_subb_u32 s3, 0, s35
	v_mac_f32_e32 v3, 0x4f800000, v8
	v_rcp_f32_e32 v3, v3
	v_mul_f32_e32 v3, 0x5f7ffffc, v3
	v_mul_f32_e32 v8, 0x2f800000, v3
	v_trunc_f32_e32 v8, v8
	v_mac_f32_e32 v3, 0xcf800000, v8
	v_cvt_u32_f32_e32 v8, v8
	v_cvt_u32_f32_e32 v3, v3
	v_mul_lo_u32 v9, s2, v8
	v_mul_hi_u32 v12, s2, v3
	v_mul_lo_u32 v11, s3, v3
	v_add_u32_e32 v9, v12, v9
	v_mul_lo_u32 v13, s2, v3
	v_add_u32_e32 v9, v9, v11
	v_mul_lo_u32 v12, v3, v9
	v_mul_hi_u32 v14, v3, v13
	v_mul_hi_u32 v11, v3, v9
	v_add_co_u32_e32 v12, vcc, v14, v12
	v_addc_co_u32_e32 v11, vcc, 0, v11, vcc
	v_mul_hi_u32 v15, v8, v13
	v_mul_lo_u32 v13, v8, v13
	v_add_co_u32_e32 v12, vcc, v12, v13
	v_mul_hi_u32 v14, v8, v9
	v_addc_co_u32_e32 v11, vcc, v11, v15, vcc
	v_addc_co_u32_e32 v12, vcc, 0, v14, vcc
	v_mul_lo_u32 v9, v8, v9
	v_add_co_u32_e32 v9, vcc, v11, v9
	v_addc_co_u32_e32 v11, vcc, 0, v12, vcc
	v_add_co_u32_e32 v3, vcc, v3, v9
	v_addc_co_u32_e32 v8, vcc, v8, v11, vcc
	v_mul_lo_u32 v9, s2, v8
	v_mul_hi_u32 v11, s2, v3
	v_add_u32_e32 v9, v11, v9
	v_mul_lo_u32 v11, s3, v3
	v_add_u32_e32 v9, v9, v11
	v_mul_lo_u32 v12, s2, v3
	v_mul_hi_u32 v13, v8, v12
	v_mul_lo_u32 v14, v8, v12
	v_mul_lo_u32 v16, v3, v9
	v_mul_hi_u32 v12, v3, v12
	v_mul_hi_u32 v15, v3, v9
	v_add_co_u32_e32 v12, vcc, v12, v16
	v_addc_co_u32_e32 v15, vcc, 0, v15, vcc
	v_add_co_u32_e32 v12, vcc, v12, v14
	v_mul_hi_u32 v11, v8, v9
	v_addc_co_u32_e32 v12, vcc, v15, v13, vcc
	v_addc_co_u32_e32 v11, vcc, 0, v11, vcc
	v_mul_lo_u32 v9, v8, v9
	v_add_co_u32_e32 v9, vcc, v12, v9
	v_addc_co_u32_e32 v11, vcc, 0, v11, vcc
	v_add_co_u32_e32 v3, vcc, v3, v9
	v_addc_co_u32_e32 v11, vcc, v8, v11, vcc
	v_ashrrev_i32_e32 v14, 31, v7
	v_add_co_u32_e32 v8, vcc, v6, v14
	v_addc_co_u32_e32 v9, vcc, v7, v14, vcc
	v_xor_b32_e32 v16, v8, v14
	v_xor_b32_e32 v15, v9, v14
	v_mad_u64_u32 v[8:9], s[2:3], v16, v11, 0
	v_mul_hi_u32 v12, v16, v3
	v_add_co_u32_e32 v17, vcc, v12, v8
	v_addc_co_u32_e32 v18, vcc, 0, v9, vcc
	v_mad_u64_u32 v[12:13], s[2:3], v15, v3, 0
	v_add_co_u32_e32 v3, vcc, v17, v12
	v_mad_u64_u32 v[8:9], s[2:3], v15, v11, 0
	v_addc_co_u32_e32 v3, vcc, v18, v13, vcc
	v_addc_co_u32_e32 v9, vcc, 0, v9, vcc
	v_add_co_u32_e32 v3, vcc, v3, v8
	v_addc_co_u32_e32 v11, vcc, 0, v9, vcc
	v_mul_lo_u32 v12, s35, v3
	v_mul_lo_u32 v13, s34, v11
	v_mad_u64_u32 v[8:9], s[2:3], s34, v3, 0
	v_add3_u32 v9, v9, v13, v12
	v_sub_u32_e32 v12, v15, v9
	v_mov_b32_e32 v13, s35
	v_sub_co_u32_e32 v8, vcc, v16, v8
	v_subb_co_u32_e64 v12, s[2:3], v12, v13, vcc
	v_subrev_co_u32_e64 v13, s[2:3], s34, v8
	v_subbrev_co_u32_e64 v12, s[2:3], 0, v12, s[2:3]
	v_cmp_le_u32_e64 s[2:3], s35, v12
	v_cndmask_b32_e64 v16, 0, -1, s[2:3]
	v_cmp_le_u32_e64 s[2:3], s34, v13
	v_cndmask_b32_e64 v13, 0, -1, s[2:3]
	v_cmp_eq_u32_e64 s[2:3], s35, v12
	v_cndmask_b32_e64 v12, v16, v13, s[2:3]
	v_add_co_u32_e64 v13, s[2:3], 2, v3
	v_subb_co_u32_e32 v9, vcc, v15, v9, vcc
	v_addc_co_u32_e64 v16, s[2:3], 0, v11, s[2:3]
	v_cmp_le_u32_e32 vcc, s35, v9
	v_add_co_u32_e64 v17, s[2:3], 1, v3
	v_cndmask_b32_e64 v15, 0, -1, vcc
	v_cmp_le_u32_e32 vcc, s34, v8
	v_addc_co_u32_e64 v18, s[2:3], 0, v11, s[2:3]
	v_cndmask_b32_e64 v8, 0, -1, vcc
	v_cmp_eq_u32_e32 vcc, s35, v9
	v_cmp_ne_u32_e64 s[2:3], 0, v12
	v_cndmask_b32_e32 v8, v15, v8, vcc
	v_cmp_ne_u32_e32 vcc, 0, v8
	v_cndmask_b32_e64 v9, v17, v13, s[2:3]
	v_cndmask_b32_e64 v12, v18, v16, s[2:3]
	v_cndmask_b32_e32 v3, v3, v9, vcc
	v_xor_b32_e32 v9, s30, v14
	v_cndmask_b32_e32 v8, v11, v12, vcc
	v_xor_b32_e32 v3, v3, v9
	v_xor_b32_e32 v11, v8, v9
	v_sub_co_u32_e32 v8, vcc, v3, v9
	v_subb_co_u32_e32 v9, vcc, v11, v9, vcc
.LBB51_7:                               ;   in Loop: Header=BB51_5 Depth=2
	s_andn2_saveexec_b64 s[2:3], s[28:29]
	s_cbranch_execz .LBB51_9
; %bb.8:                                ;   in Loop: Header=BB51_5 Depth=2
	v_cvt_f32_u32_e32 v3, s26
	s_sub_i32 s28, 0, s26
	v_rcp_iflag_f32_e32 v3, v3
	v_mul_f32_e32 v3, 0x4f7ffffe, v3
	v_cvt_u32_f32_e32 v3, v3
	v_mul_lo_u32 v8, s28, v3
	v_mul_hi_u32 v8, v3, v8
	v_add_u32_e32 v3, v3, v8
	v_mul_hi_u32 v3, v6, v3
	v_mul_lo_u32 v8, v3, s26
	v_sub_u32_e32 v8, v6, v8
	v_add_u32_e32 v9, 1, v3
	v_subrev_u32_e32 v11, s26, v8
	v_cmp_le_u32_e32 vcc, s26, v8
	v_cndmask_b32_e32 v8, v8, v11, vcc
	v_cndmask_b32_e32 v3, v3, v9, vcc
	v_add_u32_e32 v9, 1, v3
	v_cmp_le_u32_e32 vcc, s26, v8
	v_cndmask_b32_e32 v8, v3, v9, vcc
	v_mov_b32_e32 v9, v2
.LBB51_9:                               ;   in Loop: Header=BB51_5 Depth=2
	s_or_b64 exec, exec, s[2:3]
	v_mad_u64_u32 v[12:13], s[2:3], v8, s26, 0
	s_load_dwordx2 s[2:3], s[24:25], 0xc8
	v_mul_lo_u32 v3, v9, s26
	v_mul_lo_u32 v11, v8, s27
	v_add3_u32 v3, v13, v11, v3
	v_sub_co_u32_e32 v6, vcc, v6, v12
	s_add_i32 s40, s40, -1
	v_subb_co_u32_e32 v3, vcc, v7, v3, vcc
	s_add_u32 s24, s24, -8
	s_waitcnt lgkmcnt(0)
	v_mul_lo_u32 v3, s2, v3
	v_mul_lo_u32 v7, s3, v6
	v_mad_u64_u32 v[4:5], s[2:3], s2, v6, v[4:5]
	s_addc_u32 s25, s25, -1
	s_cmp_gt_u32 s40, 2
	v_add3_u32 v5, v7, v5, v3
	s_cbranch_scc0 .LBB51_11
; %bb.10:                               ;   in Loop: Header=BB51_5 Depth=2
	v_pk_mov_b32 v[6:7], v[8:9], v[8:9] op_sel:[0,1]
	s_branch .LBB51_5
.LBB51_11:                              ;   in Loop: Header=BB51_4 Depth=1
	s_waitcnt lgkmcnt(0)
	v_mul_lo_u32 v3, s19, v8
	v_mul_lo_u32 v9, s18, v9
	v_mad_u64_u32 v[6:7], s[2:3], s18, v8, 0
	v_add3_u32 v7, v7, v9, v3
	v_lshlrev_b64 v[6:7], 1, v[6:7]
	v_mov_b32_e32 v3, s21
	v_add_co_u32_e32 v6, vcc, s20, v6
	v_addc_co_u32_e32 v3, vcc, v3, v7, vcc
	v_lshlrev_b64 v[4:5], 1, v[4:5]
	v_add_co_u32_e32 v4, vcc, v6, v4
	v_addc_co_u32_e32 v5, vcc, v3, v5, vcc
	global_load_ushort v3, v[4:5], off
	s_waitcnt vmcnt(0)
	v_bfe_i32 v4, v3, 0, 16
	v_ashrrev_i32_e32 v5, 31, v4
	v_cmp_le_i64_e32 vcc, s[10:11], v[4:5]
	v_cmp_ge_i64_e64 s[2:3], s[12:13], v[4:5]
	s_and_b64 s[2:3], vcc, s[2:3]
	s_and_saveexec_b64 s[24:25], s[2:3]
	s_cbranch_execz .LBB51_3
; %bb.12:                               ;   in Loop: Header=BB51_4 Depth=1
	v_mov_b32_e32 v3, s11
	v_subrev_co_u32_e32 v4, vcc, s10, v4
	v_subb_co_u32_e32 v3, vcc, v5, v3, vcc
	v_mul_lo_u32 v3, v3, s8
	v_mul_lo_u32 v6, v4, s9
	v_mad_u64_u32 v[4:5], s[2:3], v4, s8, 0
	v_add3_u32 v5, v5, v6, v3
	v_or_b32_e32 v3, s36, v5
	v_cmp_ne_u64_e32 vcc, 0, v[2:3]
                                        ; implicit-def: $vgpr6_vgpr7
	s_and_saveexec_b64 s[2:3], vcc
	s_xor_b64 s[26:27], exec, s[2:3]
	s_cbranch_execz .LBB51_14
; %bb.13:                               ;   in Loop: Header=BB51_4 Depth=1
	s_ashr_i32 s28, s36, 31
	s_add_u32 s2, s33, s28
	s_mov_b32 s29, s28
	s_addc_u32 s3, s36, s28
	s_xor_b64 s[30:31], s[2:3], s[28:29]
	v_cvt_f32_u32_e32 v3, s30
	v_cvt_f32_u32_e32 v6, s31
	s_sub_u32 s2, 0, s30
	s_subb_u32 s3, 0, s31
	v_mac_f32_e32 v3, 0x4f800000, v6
	v_rcp_f32_e32 v3, v3
	v_mul_f32_e32 v3, 0x5f7ffffc, v3
	v_mul_f32_e32 v6, 0x2f800000, v3
	v_trunc_f32_e32 v6, v6
	v_mac_f32_e32 v3, 0xcf800000, v6
	v_cvt_u32_f32_e32 v6, v6
	v_cvt_u32_f32_e32 v3, v3
	v_mul_lo_u32 v7, s2, v6
	v_mul_hi_u32 v9, s2, v3
	v_mul_lo_u32 v8, s3, v3
	v_add_u32_e32 v7, v9, v7
	v_mul_lo_u32 v11, s2, v3
	v_add_u32_e32 v7, v7, v8
	v_mul_lo_u32 v9, v3, v7
	v_mul_hi_u32 v12, v3, v11
	v_mul_hi_u32 v8, v3, v7
	v_add_co_u32_e32 v9, vcc, v12, v9
	v_addc_co_u32_e32 v8, vcc, 0, v8, vcc
	v_mul_hi_u32 v13, v6, v11
	v_mul_lo_u32 v11, v6, v11
	v_add_co_u32_e32 v9, vcc, v9, v11
	v_mul_hi_u32 v12, v6, v7
	v_addc_co_u32_e32 v8, vcc, v8, v13, vcc
	v_addc_co_u32_e32 v9, vcc, 0, v12, vcc
	v_mul_lo_u32 v7, v6, v7
	v_add_co_u32_e32 v7, vcc, v8, v7
	v_addc_co_u32_e32 v8, vcc, 0, v9, vcc
	v_add_co_u32_e32 v3, vcc, v3, v7
	v_addc_co_u32_e32 v6, vcc, v6, v8, vcc
	v_mul_lo_u32 v7, s2, v6
	v_mul_hi_u32 v8, s2, v3
	v_add_u32_e32 v7, v8, v7
	v_mul_lo_u32 v8, s3, v3
	v_add_u32_e32 v7, v7, v8
	v_mul_lo_u32 v9, s2, v3
	v_mul_hi_u32 v11, v6, v9
	v_mul_lo_u32 v12, v6, v9
	v_mul_lo_u32 v14, v3, v7
	v_mul_hi_u32 v9, v3, v9
	v_mul_hi_u32 v13, v3, v7
	v_add_co_u32_e32 v9, vcc, v9, v14
	v_addc_co_u32_e32 v13, vcc, 0, v13, vcc
	v_add_co_u32_e32 v9, vcc, v9, v12
	v_mul_hi_u32 v8, v6, v7
	v_addc_co_u32_e32 v9, vcc, v13, v11, vcc
	v_addc_co_u32_e32 v8, vcc, 0, v8, vcc
	v_mul_lo_u32 v7, v6, v7
	v_add_co_u32_e32 v7, vcc, v9, v7
	v_addc_co_u32_e32 v8, vcc, 0, v8, vcc
	v_add_co_u32_e32 v3, vcc, v3, v7
	v_addc_co_u32_e32 v6, vcc, v6, v8, vcc
	v_ashrrev_i32_e32 v8, 31, v5
	v_add_co_u32_e32 v4, vcc, v4, v8
	v_addc_co_u32_e32 v5, vcc, v5, v8, vcc
	v_xor_b32_e32 v11, v4, v8
	v_xor_b32_e32 v9, v5, v8
	v_mad_u64_u32 v[4:5], s[2:3], v11, v6, 0
	v_mul_hi_u32 v7, v11, v3
	v_add_co_u32_e32 v12, vcc, v7, v4
	v_addc_co_u32_e32 v13, vcc, 0, v5, vcc
	v_mad_u64_u32 v[4:5], s[2:3], v9, v6, 0
	v_mad_u64_u32 v[6:7], s[2:3], v9, v3, 0
	v_add_co_u32_e32 v3, vcc, v12, v6
	v_addc_co_u32_e32 v3, vcc, v13, v7, vcc
	v_addc_co_u32_e32 v5, vcc, 0, v5, vcc
	v_add_co_u32_e32 v3, vcc, v3, v4
	v_addc_co_u32_e32 v4, vcc, 0, v5, vcc
	v_mul_lo_u32 v6, s31, v3
	v_mul_lo_u32 v7, s30, v4
	v_mad_u64_u32 v[4:5], s[2:3], s30, v3, 0
	v_add3_u32 v5, v5, v7, v6
	v_sub_u32_e32 v6, v9, v5
	v_mov_b32_e32 v7, s31
	v_sub_co_u32_e32 v4, vcc, v11, v4
	v_subb_co_u32_e64 v6, s[2:3], v6, v7, vcc
	v_subrev_co_u32_e64 v7, s[2:3], s30, v4
	v_subbrev_co_u32_e64 v6, s[2:3], 0, v6, s[2:3]
	v_cmp_le_u32_e64 s[2:3], s31, v6
	v_subb_co_u32_e32 v5, vcc, v9, v5, vcc
	v_cndmask_b32_e64 v11, 0, -1, s[2:3]
	v_cmp_le_u32_e64 s[2:3], s30, v7
	v_cmp_le_u32_e32 vcc, s31, v5
	v_cndmask_b32_e64 v7, 0, -1, s[2:3]
	v_cmp_eq_u32_e64 s[2:3], s31, v6
	v_cndmask_b32_e64 v9, 0, -1, vcc
	v_cmp_le_u32_e32 vcc, s30, v4
	v_cndmask_b32_e64 v6, v11, v7, s[2:3]
	v_cndmask_b32_e64 v4, 0, -1, vcc
	v_cmp_eq_u32_e32 vcc, s31, v5
	v_add_co_u32_e64 v7, s[2:3], 2, v3
	v_add_co_u32_e64 v11, s[2:3], 1, v3
	v_cndmask_b32_e32 v4, v9, v4, vcc
	v_cmp_ne_u32_e32 vcc, 0, v6
	v_cndmask_b32_e32 v5, v11, v7, vcc
	v_cmp_ne_u32_e32 vcc, 0, v4
	v_cndmask_b32_e32 v3, v3, v5, vcc
	v_xor_b32_e32 v4, s28, v8
	v_xor_b32_e32 v3, v3, v4
	v_sub_co_u32_e32 v6, vcc, v3, v4
                                        ; implicit-def: $vgpr4_vgpr5
.LBB51_14:                              ;   in Loop: Header=BB51_4 Depth=1
	s_andn2_saveexec_b64 s[2:3], s[26:27]
	s_cbranch_execz .LBB51_2
; %bb.15:                               ;   in Loop: Header=BB51_4 Depth=1
	v_cvt_f32_u32_e32 v3, s33
	s_sub_i32 s26, 0, s33
	v_rcp_iflag_f32_e32 v3, v3
	v_mul_f32_e32 v3, 0x4f7ffffe, v3
	v_cvt_u32_f32_e32 v3, v3
	v_mul_lo_u32 v5, s26, v3
	v_mul_hi_u32 v5, v3, v5
	v_add_u32_e32 v3, v3, v5
	v_mul_hi_u32 v3, v4, v3
	v_mul_lo_u32 v5, v3, s33
	v_sub_u32_e32 v4, v4, v5
	v_add_u32_e32 v6, 1, v3
	v_subrev_u32_e32 v5, s33, v4
	v_cmp_le_u32_e32 vcc, s33, v4
	v_cndmask_b32_e32 v4, v4, v5, vcc
	v_cndmask_b32_e32 v3, v3, v6, vcc
	v_add_u32_e32 v5, 1, v3
	v_cmp_le_u32_e32 vcc, s33, v4
	v_cndmask_b32_e32 v6, v3, v5, vcc
	s_branch .LBB51_2
.LBB51_16:
	s_endpgm
	.section	.rodata,"a",@progbits
	.p2align	6, 0x0
	.amdhsa_kernel _ZN2at4cuda17kernelHistogram1DIfslLi1ELi2ELin1ELNS0_23CUDAHistogramMemoryTypeE1EZNS0_21CUDA_tensor_histogramIfsLb1EEEbNS_6TensorES4_S4_lNS_14AccumulateTypeIT0_Lb1EE4typeES8_NS0_13TensorArgTypeES9_S9_EUllE0_EEvNS0_6detail10TensorInfoIT_T1_EESF_NSC_IKS6_SE_EElS8_S8_SE_T6_
		.amdhsa_group_segment_fixed_size 0
		.amdhsa_private_segment_fixed_size 0
		.amdhsa_kernarg_size 1544
		.amdhsa_user_sgpr_count 6
		.amdhsa_user_sgpr_private_segment_buffer 1
		.amdhsa_user_sgpr_dispatch_ptr 0
		.amdhsa_user_sgpr_queue_ptr 0
		.amdhsa_user_sgpr_kernarg_segment_ptr 1
		.amdhsa_user_sgpr_dispatch_id 0
		.amdhsa_user_sgpr_flat_scratch_init 0
		.amdhsa_user_sgpr_kernarg_preload_length 0
		.amdhsa_user_sgpr_kernarg_preload_offset 0
		.amdhsa_user_sgpr_private_segment_size 0
		.amdhsa_uses_dynamic_stack 0
		.amdhsa_system_sgpr_private_segment_wavefront_offset 0
		.amdhsa_system_sgpr_workgroup_id_x 1
		.amdhsa_system_sgpr_workgroup_id_y 0
		.amdhsa_system_sgpr_workgroup_id_z 0
		.amdhsa_system_sgpr_workgroup_info 0
		.amdhsa_system_vgpr_workitem_id 0
		.amdhsa_next_free_vgpr 19
		.amdhsa_next_free_sgpr 41
		.amdhsa_accum_offset 20
		.amdhsa_reserve_vcc 1
		.amdhsa_reserve_flat_scratch 0
		.amdhsa_float_round_mode_32 0
		.amdhsa_float_round_mode_16_64 0
		.amdhsa_float_denorm_mode_32 3
		.amdhsa_float_denorm_mode_16_64 3
		.amdhsa_dx10_clamp 1
		.amdhsa_ieee_mode 1
		.amdhsa_fp16_overflow 0
		.amdhsa_tg_split 0
		.amdhsa_exception_fp_ieee_invalid_op 0
		.amdhsa_exception_fp_denorm_src 0
		.amdhsa_exception_fp_ieee_div_zero 0
		.amdhsa_exception_fp_ieee_overflow 0
		.amdhsa_exception_fp_ieee_underflow 0
		.amdhsa_exception_fp_ieee_inexact 0
		.amdhsa_exception_int_div_zero 0
	.end_amdhsa_kernel
	.section	.text._ZN2at4cuda17kernelHistogram1DIfslLi1ELi2ELin1ELNS0_23CUDAHistogramMemoryTypeE1EZNS0_21CUDA_tensor_histogramIfsLb1EEEbNS_6TensorES4_S4_lNS_14AccumulateTypeIT0_Lb1EE4typeES8_NS0_13TensorArgTypeES9_S9_EUllE0_EEvNS0_6detail10TensorInfoIT_T1_EESF_NSC_IKS6_SE_EElS8_S8_SE_T6_,"axG",@progbits,_ZN2at4cuda17kernelHistogram1DIfslLi1ELi2ELin1ELNS0_23CUDAHistogramMemoryTypeE1EZNS0_21CUDA_tensor_histogramIfsLb1EEEbNS_6TensorES4_S4_lNS_14AccumulateTypeIT0_Lb1EE4typeES8_NS0_13TensorArgTypeES9_S9_EUllE0_EEvNS0_6detail10TensorInfoIT_T1_EESF_NSC_IKS6_SE_EElS8_S8_SE_T6_,comdat
.Lfunc_end51:
	.size	_ZN2at4cuda17kernelHistogram1DIfslLi1ELi2ELin1ELNS0_23CUDAHistogramMemoryTypeE1EZNS0_21CUDA_tensor_histogramIfsLb1EEEbNS_6TensorES4_S4_lNS_14AccumulateTypeIT0_Lb1EE4typeES8_NS0_13TensorArgTypeES9_S9_EUllE0_EEvNS0_6detail10TensorInfoIT_T1_EESF_NSC_IKS6_SE_EElS8_S8_SE_T6_, .Lfunc_end51-_ZN2at4cuda17kernelHistogram1DIfslLi1ELi2ELin1ELNS0_23CUDAHistogramMemoryTypeE1EZNS0_21CUDA_tensor_histogramIfsLb1EEEbNS_6TensorES4_S4_lNS_14AccumulateTypeIT0_Lb1EE4typeES8_NS0_13TensorArgTypeES9_S9_EUllE0_EEvNS0_6detail10TensorInfoIT_T1_EESF_NSC_IKS6_SE_EElS8_S8_SE_T6_
                                        ; -- End function
	.section	.AMDGPU.csdata,"",@progbits
; Kernel info:
; codeLenInByte = 2224
; NumSgprs: 45
; NumVgprs: 19
; NumAgprs: 0
; TotalNumVgprs: 19
; ScratchSize: 0
; MemoryBound: 0
; FloatMode: 240
; IeeeMode: 1
; LDSByteSize: 0 bytes/workgroup (compile time only)
; SGPRBlocks: 5
; VGPRBlocks: 2
; NumSGPRsForWavesPerEU: 45
; NumVGPRsForWavesPerEU: 19
; AccumOffset: 20
; Occupancy: 8
; WaveLimiterHint : 1
; COMPUTE_PGM_RSRC2:SCRATCH_EN: 0
; COMPUTE_PGM_RSRC2:USER_SGPR: 6
; COMPUTE_PGM_RSRC2:TRAP_HANDLER: 0
; COMPUTE_PGM_RSRC2:TGID_X_EN: 1
; COMPUTE_PGM_RSRC2:TGID_Y_EN: 0
; COMPUTE_PGM_RSRC2:TGID_Z_EN: 0
; COMPUTE_PGM_RSRC2:TIDIG_COMP_CNT: 0
; COMPUTE_PGM_RSRC3_GFX90A:ACCUM_OFFSET: 4
; COMPUTE_PGM_RSRC3_GFX90A:TG_SPLIT: 0
	.section	.text._ZN2at4cuda17kernelHistogram1DIlslLi1ELi2ELin1ELNS0_23CUDAHistogramMemoryTypeE0EZNS0_21CUDA_tensor_histogramIlsLb0EEEbNS_6TensorES4_S4_lNS_14AccumulateTypeIT0_Lb1EE4typeES8_NS0_13TensorArgTypeES9_S9_EUllE_EEvNS0_6detail10TensorInfoIT_T1_EESF_NSC_IKS6_SE_EElS8_S8_SE_T6_,"axG",@progbits,_ZN2at4cuda17kernelHistogram1DIlslLi1ELi2ELin1ELNS0_23CUDAHistogramMemoryTypeE0EZNS0_21CUDA_tensor_histogramIlsLb0EEEbNS_6TensorES4_S4_lNS_14AccumulateTypeIT0_Lb1EE4typeES8_NS0_13TensorArgTypeES9_S9_EUllE_EEvNS0_6detail10TensorInfoIT_T1_EESF_NSC_IKS6_SE_EElS8_S8_SE_T6_,comdat
	.protected	_ZN2at4cuda17kernelHistogram1DIlslLi1ELi2ELin1ELNS0_23CUDAHistogramMemoryTypeE0EZNS0_21CUDA_tensor_histogramIlsLb0EEEbNS_6TensorES4_S4_lNS_14AccumulateTypeIT0_Lb1EE4typeES8_NS0_13TensorArgTypeES9_S9_EUllE_EEvNS0_6detail10TensorInfoIT_T1_EESF_NSC_IKS6_SE_EElS8_S8_SE_T6_ ; -- Begin function _ZN2at4cuda17kernelHistogram1DIlslLi1ELi2ELin1ELNS0_23CUDAHistogramMemoryTypeE0EZNS0_21CUDA_tensor_histogramIlsLb0EEEbNS_6TensorES4_S4_lNS_14AccumulateTypeIT0_Lb1EE4typeES8_NS0_13TensorArgTypeES9_S9_EUllE_EEvNS0_6detail10TensorInfoIT_T1_EESF_NSC_IKS6_SE_EElS8_S8_SE_T6_
	.globl	_ZN2at4cuda17kernelHistogram1DIlslLi1ELi2ELin1ELNS0_23CUDAHistogramMemoryTypeE0EZNS0_21CUDA_tensor_histogramIlsLb0EEEbNS_6TensorES4_S4_lNS_14AccumulateTypeIT0_Lb1EE4typeES8_NS0_13TensorArgTypeES9_S9_EUllE_EEvNS0_6detail10TensorInfoIT_T1_EESF_NSC_IKS6_SE_EElS8_S8_SE_T6_
	.p2align	8
	.type	_ZN2at4cuda17kernelHistogram1DIlslLi1ELi2ELin1ELNS0_23CUDAHistogramMemoryTypeE0EZNS0_21CUDA_tensor_histogramIlsLb0EEEbNS_6TensorES4_S4_lNS_14AccumulateTypeIT0_Lb1EE4typeES8_NS0_13TensorArgTypeES9_S9_EUllE_EEvNS0_6detail10TensorInfoIT_T1_EESF_NSC_IKS6_SE_EElS8_S8_SE_T6_,@function
_ZN2at4cuda17kernelHistogram1DIlslLi1ELi2ELin1ELNS0_23CUDAHistogramMemoryTypeE0EZNS0_21CUDA_tensor_histogramIlsLb0EEEbNS_6TensorES4_S4_lNS_14AccumulateTypeIT0_Lb1EE4typeES8_NS0_13TensorArgTypeES9_S9_EUllE_EEvNS0_6detail10TensorInfoIT_T1_EESF_NSC_IKS6_SE_EElS8_S8_SE_T6_: ; @_ZN2at4cuda17kernelHistogram1DIlslLi1ELi2ELin1ELNS0_23CUDAHistogramMemoryTypeE0EZNS0_21CUDA_tensor_histogramIlsLb0EEEbNS_6TensorES4_S4_lNS_14AccumulateTypeIT0_Lb1EE4typeES8_NS0_13TensorArgTypeES9_S9_EUllE_EEvNS0_6detail10TensorInfoIT_T1_EESF_NSC_IKS6_SE_EElS8_S8_SE_T6_
; %bb.0:
	s_load_dwordx4 s[16:19], s[4:5], 0x0
	s_load_dwordx2 s[20:21], s[4:5], 0x500
	s_load_dwordx8 s[8:15], s[4:5], 0x4e0
	v_mov_b32_e32 v1, 0
	s_add_u32 s2, s4, 0x6a0
	s_waitcnt lgkmcnt(0)
	v_cmp_gt_i64_e64 s[0:1], s[18:19], v[0:1]
	v_cmp_le_i64_e32 vcc, s[18:19], v[0:1]
	s_addc_u32 s3, s5, 0
                                        ; implicit-def: $sgpr7
                                        ; implicit-def: $sgpr28
	s_and_saveexec_b64 s[22:23], vcc
	s_xor_b64 s[22:23], exec, s[22:23]
	s_cbranch_execz .LBB52_2
; %bb.1:
	s_load_dword s7, s[2:3], 0xc
	s_waitcnt lgkmcnt(0)
	s_and_b32 s28, s7, 0xffff
.LBB52_2:
	s_or_saveexec_b64 s[26:27], s[22:23]
	s_load_dwordx2 s[22:23], s[4:5], 0xd0
	s_load_dwordx2 s[24:25], s[4:5], 0x5d0
	v_mov_b32_e32 v7, s7
	v_mov_b32_e32 v15, s28
	v_lshl_add_u32 v14, v0, 3, 0
	s_xor_b64 exec, exec, s[26:27]
	s_cbranch_execz .LBB52_6
; %bb.3:
	s_load_dword s7, s[2:3], 0xc
	s_mov_b32 s33, 0
	v_mov_b32_e32 v2, 0
	v_lshl_add_u32 v6, v0, 3, 0
	s_mov_b64 s[28:29], 0
	s_waitcnt lgkmcnt(0)
	s_and_b32 s30, s7, 0xffff
	s_lshl_b32 s31, s30, 3
	v_mov_b32_e32 v3, v2
	v_mov_b32_e32 v7, s33
	v_pk_mov_b32 v[4:5], v[0:1], v[0:1] op_sel:[0,1]
.LBB52_4:                               ; =>This Inner Loop Header: Depth=1
	v_add_co_u32_e32 v4, vcc, s30, v4
	v_addc_co_u32_e32 v5, vcc, v5, v7, vcc
	v_cmp_le_i64_e32 vcc, s[18:19], v[4:5]
	ds_write_b64 v6, v[2:3]
	s_or_b64 s[28:29], vcc, s[28:29]
	v_add_u32_e32 v6, s31, v6
	s_andn2_b64 exec, exec, s[28:29]
	s_cbranch_execnz .LBB52_4
; %bb.5:
	s_or_b64 exec, exec, s[28:29]
	v_mov_b32_e32 v7, s7
	v_mov_b32_e32 v15, s30
.LBB52_6:
	s_or_b64 exec, exec, s[26:27]
	v_mad_u64_u32 v[2:3], s[6:7], s6, v15, v[0:1]
	v_mov_b32_e32 v4, 0
	v_mov_b32_e32 v3, v4
	v_cmp_gt_i64_e32 vcc, s[14:15], v[2:3]
	s_waitcnt lgkmcnt(0)
	s_barrier
	s_and_saveexec_b64 s[6:7], vcc
	s_cbranch_execz .LBB52_22
; %bb.7:
	s_load_dword s30, s[4:5], 0x4d8
	s_load_dwordx2 s[26:27], s[4:5], 0x410
	s_load_dwordx2 s[28:29], s[4:5], 0x340
	s_add_u32 s31, s4, 0x340
	s_addc_u32 s35, s5, 0
	s_waitcnt lgkmcnt(0)
	s_cmp_gt_i32 s30, 1
	s_load_dword s34, s[2:3], 0x0
	s_cselect_b64 s[2:3], -1, 0
	s_sub_u32 s33, s12, s10
	s_subb_u32 s46, s13, s11
	s_mov_b32 s5, 0
	s_add_i32 s4, s30, -1
	s_add_i32 s47, s30, 1
	s_lshl_b64 s[4:5], s[4:5], 3
	s_add_u32 s4, s4, s31
	s_addc_u32 s5, s5, s35
	s_add_u32 s30, s4, 8
	v_cndmask_b32_e64 v5, 0, 1, s[2:3]
	s_waitcnt lgkmcnt(0)
	v_mul_lo_u32 v6, s34, v15
	s_addc_u32 s31, s5, 0
	s_mov_b64 s[34:35], 0
	v_cmp_ne_u32_e64 s[2:3], 1, v5
	s_branch .LBB52_10
.LBB52_8:                               ;   in Loop: Header=BB52_10 Depth=1
	s_or_b64 exec, exec, s[4:5]
	v_mul_lo_u32 v5, v3, s24
	v_mul_lo_u32 v11, v2, s25
	v_mad_u64_u32 v[8:9], s[4:5], v2, s24, 0
	v_add3_u32 v9, v9, v11, v5
	v_lshlrev_b64 v[8:9], 3, v[8:9]
	v_mov_b32_e32 v5, s21
	v_add_co_u32_e32 v8, vcc, s20, v8
	v_addc_co_u32_e32 v9, vcc, v5, v9, vcc
	global_load_dwordx2 v[8:9], v[8:9], off
	v_ashrrev_i32_e32 v11, 31, v10
	v_cmp_eq_u64_e32 vcc, s[8:9], v[10:11]
	v_subbrev_co_u32_e32 v5, vcc, 0, v10, vcc
	v_lshl_add_u32 v5, v5, 3, 0
	s_waitcnt vmcnt(0)
	ds_add_u64 v5, v[8:9]
.LBB52_9:                               ;   in Loop: Header=BB52_10 Depth=1
	s_or_b64 exec, exec, s[36:37]
	v_add_co_u32_e32 v2, vcc, v2, v6
	v_addc_co_u32_e32 v3, vcc, 0, v3, vcc
	v_cmp_le_i64_e32 vcc, s[14:15], v[2:3]
	s_or_b64 s[34:35], vcc, s[34:35]
	s_andn2_b64 exec, exec, s[34:35]
	s_cbranch_execz .LBB52_22
.LBB52_10:                              ; =>This Loop Header: Depth=1
                                        ;     Child Loop BB52_11 Depth 2
	s_and_b64 vcc, exec, s[2:3]
	v_pk_mov_b32 v[8:9], 0, 0
	s_mov_b64 s[36:37], s[30:31]
	s_mov_b32 s48, s47
	v_pk_mov_b32 v[10:11], v[2:3], v[2:3] op_sel:[0,1]
	v_pk_mov_b32 v[12:13], v[2:3], v[2:3] op_sel:[0,1]
	s_cbranch_vccnz .LBB52_17
.LBB52_11:                              ;   Parent Loop BB52_10 Depth=1
                                        ; =>  This Inner Loop Header: Depth=2
	s_load_dwordx2 s[38:39], s[36:37], 0x0
                                        ; implicit-def: $vgpr12_vgpr13
	s_waitcnt lgkmcnt(0)
	v_or_b32_e32 v5, s39, v11
	v_cmp_ne_u64_e32 vcc, 0, v[4:5]
	s_and_saveexec_b64 s[4:5], vcc
	s_xor_b64 s[40:41], exec, s[4:5]
	s_cbranch_execz .LBB52_13
; %bb.12:                               ;   in Loop: Header=BB52_11 Depth=2
	s_ashr_i32 s42, s39, 31
	s_add_u32 s4, s38, s42
	s_mov_b32 s43, s42
	s_addc_u32 s5, s39, s42
	s_xor_b64 s[44:45], s[4:5], s[42:43]
	v_cvt_f32_u32_e32 v5, s44
	v_cvt_f32_u32_e32 v12, s45
	s_sub_u32 s4, 0, s44
	s_subb_u32 s5, 0, s45
	v_mac_f32_e32 v5, 0x4f800000, v12
	v_rcp_f32_e32 v5, v5
	v_mul_f32_e32 v5, 0x5f7ffffc, v5
	v_mul_f32_e32 v12, 0x2f800000, v5
	v_trunc_f32_e32 v12, v12
	v_mac_f32_e32 v5, 0xcf800000, v12
	v_cvt_u32_f32_e32 v12, v12
	v_cvt_u32_f32_e32 v5, v5
	v_mul_lo_u32 v13, s4, v12
	v_mul_hi_u32 v17, s4, v5
	v_mul_lo_u32 v16, s5, v5
	v_add_u32_e32 v13, v17, v13
	v_mul_lo_u32 v18, s4, v5
	v_add_u32_e32 v13, v13, v16
	v_mul_lo_u32 v17, v5, v13
	v_mul_hi_u32 v19, v5, v18
	v_mul_hi_u32 v16, v5, v13
	v_add_co_u32_e32 v17, vcc, v19, v17
	v_addc_co_u32_e32 v16, vcc, 0, v16, vcc
	v_mul_hi_u32 v20, v12, v18
	v_mul_lo_u32 v18, v12, v18
	v_add_co_u32_e32 v17, vcc, v17, v18
	v_mul_hi_u32 v19, v12, v13
	v_addc_co_u32_e32 v16, vcc, v16, v20, vcc
	v_addc_co_u32_e32 v17, vcc, 0, v19, vcc
	v_mul_lo_u32 v13, v12, v13
	v_add_co_u32_e32 v13, vcc, v16, v13
	v_addc_co_u32_e32 v16, vcc, 0, v17, vcc
	v_add_co_u32_e32 v5, vcc, v5, v13
	v_addc_co_u32_e32 v12, vcc, v12, v16, vcc
	v_mul_lo_u32 v13, s4, v12
	v_mul_hi_u32 v16, s4, v5
	v_add_u32_e32 v13, v16, v13
	v_mul_lo_u32 v16, s5, v5
	v_add_u32_e32 v13, v13, v16
	v_mul_lo_u32 v17, s4, v5
	v_mul_hi_u32 v18, v12, v17
	v_mul_lo_u32 v19, v12, v17
	v_mul_lo_u32 v21, v5, v13
	v_mul_hi_u32 v17, v5, v17
	v_mul_hi_u32 v20, v5, v13
	v_add_co_u32_e32 v17, vcc, v17, v21
	v_addc_co_u32_e32 v20, vcc, 0, v20, vcc
	v_add_co_u32_e32 v17, vcc, v17, v19
	v_mul_hi_u32 v16, v12, v13
	v_addc_co_u32_e32 v17, vcc, v20, v18, vcc
	v_addc_co_u32_e32 v16, vcc, 0, v16, vcc
	v_mul_lo_u32 v13, v12, v13
	v_add_co_u32_e32 v13, vcc, v17, v13
	v_addc_co_u32_e32 v16, vcc, 0, v16, vcc
	v_add_co_u32_e32 v5, vcc, v5, v13
	v_addc_co_u32_e32 v16, vcc, v12, v16, vcc
	v_ashrrev_i32_e32 v18, 31, v11
	v_add_co_u32_e32 v12, vcc, v10, v18
	v_addc_co_u32_e32 v13, vcc, v11, v18, vcc
	v_xor_b32_e32 v20, v12, v18
	v_xor_b32_e32 v19, v13, v18
	v_mad_u64_u32 v[12:13], s[4:5], v20, v16, 0
	v_mul_hi_u32 v17, v20, v5
	v_add_co_u32_e32 v21, vcc, v17, v12
	v_addc_co_u32_e32 v22, vcc, 0, v13, vcc
	v_mad_u64_u32 v[12:13], s[4:5], v19, v16, 0
	v_mad_u64_u32 v[16:17], s[4:5], v19, v5, 0
	v_add_co_u32_e32 v5, vcc, v21, v16
	v_addc_co_u32_e32 v5, vcc, v22, v17, vcc
	v_addc_co_u32_e32 v13, vcc, 0, v13, vcc
	v_add_co_u32_e32 v5, vcc, v5, v12
	v_addc_co_u32_e32 v16, vcc, 0, v13, vcc
	v_mul_lo_u32 v17, s45, v5
	v_mul_lo_u32 v21, s44, v16
	v_mad_u64_u32 v[12:13], s[4:5], s44, v5, 0
	v_add3_u32 v13, v13, v21, v17
	v_sub_u32_e32 v17, v19, v13
	v_mov_b32_e32 v21, s45
	v_sub_co_u32_e32 v12, vcc, v20, v12
	v_subb_co_u32_e64 v17, s[4:5], v17, v21, vcc
	v_subrev_co_u32_e64 v20, s[4:5], s44, v12
	v_subbrev_co_u32_e64 v17, s[4:5], 0, v17, s[4:5]
	v_cmp_le_u32_e64 s[4:5], s45, v17
	v_cndmask_b32_e64 v21, 0, -1, s[4:5]
	v_cmp_le_u32_e64 s[4:5], s44, v20
	v_cndmask_b32_e64 v20, 0, -1, s[4:5]
	v_cmp_eq_u32_e64 s[4:5], s45, v17
	v_cndmask_b32_e64 v17, v21, v20, s[4:5]
	v_add_co_u32_e64 v20, s[4:5], 2, v5
	v_subb_co_u32_e32 v13, vcc, v19, v13, vcc
	v_addc_co_u32_e64 v21, s[4:5], 0, v16, s[4:5]
	v_cmp_le_u32_e32 vcc, s45, v13
	v_add_co_u32_e64 v22, s[4:5], 1, v5
	v_cndmask_b32_e64 v19, 0, -1, vcc
	v_cmp_le_u32_e32 vcc, s44, v12
	v_addc_co_u32_e64 v23, s[4:5], 0, v16, s[4:5]
	v_cndmask_b32_e64 v12, 0, -1, vcc
	v_cmp_eq_u32_e32 vcc, s45, v13
	v_cmp_ne_u32_e64 s[4:5], 0, v17
	v_cndmask_b32_e32 v12, v19, v12, vcc
	v_cmp_ne_u32_e32 vcc, 0, v12
	v_cndmask_b32_e64 v13, v22, v20, s[4:5]
	v_cndmask_b32_e64 v17, v23, v21, s[4:5]
	v_cndmask_b32_e32 v5, v5, v13, vcc
	v_xor_b32_e32 v13, s42, v18
	v_cndmask_b32_e32 v12, v16, v17, vcc
	v_xor_b32_e32 v5, v5, v13
	v_xor_b32_e32 v16, v12, v13
	v_sub_co_u32_e32 v12, vcc, v5, v13
	v_subb_co_u32_e32 v13, vcc, v16, v13, vcc
.LBB52_13:                              ;   in Loop: Header=BB52_11 Depth=2
	s_andn2_saveexec_b64 s[4:5], s[40:41]
	s_cbranch_execz .LBB52_15
; %bb.14:                               ;   in Loop: Header=BB52_11 Depth=2
	v_cvt_f32_u32_e32 v5, s38
	s_sub_i32 s40, 0, s38
	v_rcp_iflag_f32_e32 v5, v5
	v_mul_f32_e32 v5, 0x4f7ffffe, v5
	v_cvt_u32_f32_e32 v5, v5
	v_mul_lo_u32 v12, s40, v5
	v_mul_hi_u32 v12, v5, v12
	v_add_u32_e32 v5, v5, v12
	v_mul_hi_u32 v5, v10, v5
	v_mul_lo_u32 v12, v5, s38
	v_sub_u32_e32 v12, v10, v12
	v_add_u32_e32 v13, 1, v5
	v_subrev_u32_e32 v16, s38, v12
	v_cmp_le_u32_e32 vcc, s38, v12
	v_cndmask_b32_e32 v12, v12, v16, vcc
	v_cndmask_b32_e32 v5, v5, v13, vcc
	v_add_u32_e32 v13, 1, v5
	v_cmp_le_u32_e32 vcc, s38, v12
	v_cndmask_b32_e32 v12, v5, v13, vcc
	v_mov_b32_e32 v13, v4
.LBB52_15:                              ;   in Loop: Header=BB52_11 Depth=2
	s_or_b64 exec, exec, s[4:5]
	v_mad_u64_u32 v[16:17], s[4:5], v12, s38, 0
	s_load_dwordx2 s[4:5], s[36:37], 0xc8
	v_mul_lo_u32 v5, v13, s38
	v_mul_lo_u32 v18, v12, s39
	v_add3_u32 v5, v17, v18, v5
	v_sub_co_u32_e32 v10, vcc, v10, v16
	s_add_i32 s48, s48, -1
	v_subb_co_u32_e32 v5, vcc, v11, v5, vcc
	s_add_u32 s36, s36, -8
	s_waitcnt lgkmcnt(0)
	v_mul_lo_u32 v5, s4, v5
	v_mul_lo_u32 v11, s5, v10
	v_mad_u64_u32 v[8:9], s[4:5], s4, v10, v[8:9]
	s_addc_u32 s37, s37, -1
	s_cmp_gt_u32 s48, 2
	v_add3_u32 v9, v11, v9, v5
	s_cbranch_scc0 .LBB52_17
; %bb.16:                               ;   in Loop: Header=BB52_11 Depth=2
	v_pk_mov_b32 v[10:11], v[12:13], v[12:13] op_sel:[0,1]
	s_branch .LBB52_11
.LBB52_17:                              ;   in Loop: Header=BB52_10 Depth=1
	v_mul_lo_u32 v5, s27, v12
	v_mul_lo_u32 v13, s26, v13
	v_mad_u64_u32 v[10:11], s[4:5], s26, v12, 0
	v_add3_u32 v11, v11, v13, v5
	v_lshlrev_b64 v[10:11], 1, v[10:11]
	v_mov_b32_e32 v5, s29
	v_add_co_u32_e32 v10, vcc, s28, v10
	v_addc_co_u32_e32 v5, vcc, v5, v11, vcc
	v_lshlrev_b64 v[8:9], 1, v[8:9]
	v_add_co_u32_e32 v8, vcc, v10, v8
	v_addc_co_u32_e32 v9, vcc, v5, v9, vcc
	global_load_ushort v5, v[8:9], off
	s_waitcnt vmcnt(0)
	v_bfe_i32 v8, v5, 0, 16
	v_ashrrev_i32_e32 v9, 31, v8
	v_cmp_le_i64_e32 vcc, s[10:11], v[8:9]
	v_cmp_ge_i64_e64 s[4:5], s[12:13], v[8:9]
	s_and_b64 s[4:5], vcc, s[4:5]
	s_and_saveexec_b64 s[36:37], s[4:5]
	s_cbranch_execz .LBB52_9
; %bb.18:                               ;   in Loop: Header=BB52_10 Depth=1
	v_mov_b32_e32 v5, s11
	v_subrev_co_u32_e32 v8, vcc, s10, v8
	v_subb_co_u32_e32 v5, vcc, v9, v5, vcc
	v_mul_lo_u32 v5, v5, s8
	v_mul_lo_u32 v10, v8, s9
	v_mad_u64_u32 v[8:9], s[4:5], v8, s8, 0
	v_add3_u32 v9, v9, v10, v5
	v_or_b32_e32 v5, s46, v9
	v_cmp_ne_u64_e32 vcc, 0, v[4:5]
                                        ; implicit-def: $vgpr10_vgpr11
	s_and_saveexec_b64 s[4:5], vcc
	s_xor_b64 s[38:39], exec, s[4:5]
	s_cbranch_execz .LBB52_20
; %bb.19:                               ;   in Loop: Header=BB52_10 Depth=1
	s_ashr_i32 s40, s46, 31
	s_add_u32 s4, s33, s40
	s_mov_b32 s41, s40
	s_addc_u32 s5, s46, s40
	s_xor_b64 s[42:43], s[4:5], s[40:41]
	v_cvt_f32_u32_e32 v5, s42
	v_cvt_f32_u32_e32 v10, s43
	s_sub_u32 s4, 0, s42
	s_subb_u32 s5, 0, s43
	v_mac_f32_e32 v5, 0x4f800000, v10
	v_rcp_f32_e32 v5, v5
	v_mul_f32_e32 v5, 0x5f7ffffc, v5
	v_mul_f32_e32 v10, 0x2f800000, v5
	v_trunc_f32_e32 v10, v10
	v_mac_f32_e32 v5, 0xcf800000, v10
	v_cvt_u32_f32_e32 v10, v10
	v_cvt_u32_f32_e32 v5, v5
	v_mul_lo_u32 v11, s4, v10
	v_mul_hi_u32 v13, s4, v5
	v_mul_lo_u32 v12, s5, v5
	v_add_u32_e32 v11, v13, v11
	v_mul_lo_u32 v16, s4, v5
	v_add_u32_e32 v11, v11, v12
	v_mul_lo_u32 v13, v5, v11
	v_mul_hi_u32 v17, v5, v16
	v_mul_hi_u32 v12, v5, v11
	v_add_co_u32_e32 v13, vcc, v17, v13
	v_addc_co_u32_e32 v12, vcc, 0, v12, vcc
	v_mul_hi_u32 v18, v10, v16
	v_mul_lo_u32 v16, v10, v16
	v_add_co_u32_e32 v13, vcc, v13, v16
	v_mul_hi_u32 v17, v10, v11
	v_addc_co_u32_e32 v12, vcc, v12, v18, vcc
	v_addc_co_u32_e32 v13, vcc, 0, v17, vcc
	v_mul_lo_u32 v11, v10, v11
	v_add_co_u32_e32 v11, vcc, v12, v11
	v_addc_co_u32_e32 v12, vcc, 0, v13, vcc
	v_add_co_u32_e32 v5, vcc, v5, v11
	v_addc_co_u32_e32 v10, vcc, v10, v12, vcc
	v_mul_lo_u32 v11, s4, v10
	v_mul_hi_u32 v12, s4, v5
	v_add_u32_e32 v11, v12, v11
	v_mul_lo_u32 v12, s5, v5
	v_add_u32_e32 v11, v11, v12
	v_mul_lo_u32 v13, s4, v5
	v_mul_hi_u32 v16, v10, v13
	v_mul_lo_u32 v17, v10, v13
	v_mul_lo_u32 v19, v5, v11
	v_mul_hi_u32 v13, v5, v13
	v_mul_hi_u32 v18, v5, v11
	v_add_co_u32_e32 v13, vcc, v13, v19
	v_addc_co_u32_e32 v18, vcc, 0, v18, vcc
	v_add_co_u32_e32 v13, vcc, v13, v17
	v_mul_hi_u32 v12, v10, v11
	v_addc_co_u32_e32 v13, vcc, v18, v16, vcc
	v_addc_co_u32_e32 v12, vcc, 0, v12, vcc
	v_mul_lo_u32 v11, v10, v11
	v_add_co_u32_e32 v11, vcc, v13, v11
	v_addc_co_u32_e32 v12, vcc, 0, v12, vcc
	v_add_co_u32_e32 v5, vcc, v5, v11
	v_addc_co_u32_e32 v10, vcc, v10, v12, vcc
	v_ashrrev_i32_e32 v12, 31, v9
	v_add_co_u32_e32 v8, vcc, v8, v12
	v_addc_co_u32_e32 v9, vcc, v9, v12, vcc
	v_xor_b32_e32 v16, v8, v12
	v_xor_b32_e32 v13, v9, v12
	v_mad_u64_u32 v[8:9], s[4:5], v16, v10, 0
	v_mul_hi_u32 v11, v16, v5
	v_add_co_u32_e32 v17, vcc, v11, v8
	v_addc_co_u32_e32 v18, vcc, 0, v9, vcc
	v_mad_u64_u32 v[8:9], s[4:5], v13, v10, 0
	v_mad_u64_u32 v[10:11], s[4:5], v13, v5, 0
	v_add_co_u32_e32 v5, vcc, v17, v10
	v_addc_co_u32_e32 v5, vcc, v18, v11, vcc
	v_addc_co_u32_e32 v9, vcc, 0, v9, vcc
	v_add_co_u32_e32 v5, vcc, v5, v8
	v_addc_co_u32_e32 v8, vcc, 0, v9, vcc
	v_mul_lo_u32 v10, s43, v5
	v_mul_lo_u32 v11, s42, v8
	v_mad_u64_u32 v[8:9], s[4:5], s42, v5, 0
	v_add3_u32 v9, v9, v11, v10
	v_sub_u32_e32 v10, v13, v9
	v_mov_b32_e32 v11, s43
	v_sub_co_u32_e32 v8, vcc, v16, v8
	v_subb_co_u32_e64 v10, s[4:5], v10, v11, vcc
	v_subrev_co_u32_e64 v11, s[4:5], s42, v8
	v_subbrev_co_u32_e64 v10, s[4:5], 0, v10, s[4:5]
	v_cmp_le_u32_e64 s[4:5], s43, v10
	v_subb_co_u32_e32 v9, vcc, v13, v9, vcc
	v_cndmask_b32_e64 v16, 0, -1, s[4:5]
	v_cmp_le_u32_e64 s[4:5], s42, v11
	v_cmp_le_u32_e32 vcc, s43, v9
	v_cndmask_b32_e64 v11, 0, -1, s[4:5]
	v_cmp_eq_u32_e64 s[4:5], s43, v10
	v_cndmask_b32_e64 v13, 0, -1, vcc
	v_cmp_le_u32_e32 vcc, s42, v8
	v_cndmask_b32_e64 v10, v16, v11, s[4:5]
	v_cndmask_b32_e64 v8, 0, -1, vcc
	v_cmp_eq_u32_e32 vcc, s43, v9
	v_add_co_u32_e64 v11, s[4:5], 2, v5
	v_add_co_u32_e64 v16, s[4:5], 1, v5
	v_cndmask_b32_e32 v8, v13, v8, vcc
	v_cmp_ne_u32_e32 vcc, 0, v10
	v_cndmask_b32_e32 v9, v16, v11, vcc
	v_cmp_ne_u32_e32 vcc, 0, v8
	v_cndmask_b32_e32 v5, v5, v9, vcc
	v_xor_b32_e32 v8, s40, v12
	v_xor_b32_e32 v5, v5, v8
	v_sub_co_u32_e32 v10, vcc, v5, v8
                                        ; implicit-def: $vgpr8_vgpr9
.LBB52_20:                              ;   in Loop: Header=BB52_10 Depth=1
	s_andn2_saveexec_b64 s[4:5], s[38:39]
	s_cbranch_execz .LBB52_8
; %bb.21:                               ;   in Loop: Header=BB52_10 Depth=1
	v_cvt_f32_u32_e32 v5, s33
	s_sub_i32 s38, 0, s33
	v_rcp_iflag_f32_e32 v5, v5
	v_mul_f32_e32 v5, 0x4f7ffffe, v5
	v_cvt_u32_f32_e32 v5, v5
	v_mul_lo_u32 v9, s38, v5
	v_mul_hi_u32 v9, v5, v9
	v_add_u32_e32 v5, v5, v9
	v_mul_hi_u32 v5, v8, v5
	v_mul_lo_u32 v9, v5, s33
	v_sub_u32_e32 v8, v8, v9
	v_add_u32_e32 v10, 1, v5
	v_subrev_u32_e32 v9, s33, v8
	v_cmp_le_u32_e32 vcc, s33, v8
	v_cndmask_b32_e32 v8, v8, v9, vcc
	v_cndmask_b32_e32 v5, v5, v10, vcc
	v_add_u32_e32 v9, 1, v5
	v_cmp_le_u32_e32 vcc, s33, v8
	v_cndmask_b32_e32 v10, v5, v9, vcc
	s_branch .LBB52_8
.LBB52_22:
	s_or_b64 exec, exec, s[6:7]
; %bb.23:
	s_waitcnt lgkmcnt(0)
	s_barrier
	s_and_saveexec_b64 s[2:3], s[0:1]
	s_cbranch_execz .LBB52_26
; %bb.24:
	v_mad_u64_u32 v[4:5], s[0:1], s22, v0, 0
	v_mov_b32_e32 v6, v5
	v_and_b32_e32 v2, 0xffff, v7
	v_mad_u64_u32 v[6:7], s[0:1], s23, v0, v[6:7]
	v_mov_b32_e32 v5, v6
	v_mad_u64_u32 v[6:7], s[0:1], s22, v2, 0
	v_mov_b32_e32 v8, v7
	v_lshlrev_b64 v[4:5], 3, v[4:5]
	v_mad_u64_u32 v[8:9], s[0:1], s23, v2, v[8:9]
	v_mov_b32_e32 v3, s17
	v_add_co_u32_e32 v4, vcc, s16, v4
	v_mov_b32_e32 v7, v8
	v_addc_co_u32_e32 v5, vcc, v3, v5, vcc
	v_lshlrev_b64 v[6:7], 3, v[6:7]
	v_lshlrev_b32_e32 v3, 3, v15
	s_mov_b64 s[0:1], 0
.LBB52_25:                              ; =>This Inner Loop Header: Depth=1
	ds_read_b64 v[8:9], v14
	v_add_co_u32_e32 v0, vcc, v0, v2
	v_addc_co_u32_e32 v1, vcc, 0, v1, vcc
	s_waitcnt lgkmcnt(0)
	global_atomic_add_x2 v[4:5], v[8:9], off
	v_cmp_le_i64_e32 vcc, s[18:19], v[0:1]
	s_or_b64 s[0:1], vcc, s[0:1]
	v_add_co_u32_e32 v4, vcc, v4, v6
	v_add_u32_e32 v14, v14, v3
	v_addc_co_u32_e32 v5, vcc, v5, v7, vcc
	s_andn2_b64 exec, exec, s[0:1]
	s_cbranch_execnz .LBB52_25
.LBB52_26:
	s_endpgm
	.section	.rodata,"a",@progbits
	.p2align	6, 0x0
	.amdhsa_kernel _ZN2at4cuda17kernelHistogram1DIlslLi1ELi2ELin1ELNS0_23CUDAHistogramMemoryTypeE0EZNS0_21CUDA_tensor_histogramIlsLb0EEEbNS_6TensorES4_S4_lNS_14AccumulateTypeIT0_Lb1EE4typeES8_NS0_13TensorArgTypeES9_S9_EUllE_EEvNS0_6detail10TensorInfoIT_T1_EESF_NSC_IKS6_SE_EElS8_S8_SE_T6_
		.amdhsa_group_segment_fixed_size 0
		.amdhsa_private_segment_fixed_size 0
		.amdhsa_kernarg_size 1952
		.amdhsa_user_sgpr_count 6
		.amdhsa_user_sgpr_private_segment_buffer 1
		.amdhsa_user_sgpr_dispatch_ptr 0
		.amdhsa_user_sgpr_queue_ptr 0
		.amdhsa_user_sgpr_kernarg_segment_ptr 1
		.amdhsa_user_sgpr_dispatch_id 0
		.amdhsa_user_sgpr_flat_scratch_init 0
		.amdhsa_user_sgpr_kernarg_preload_length 0
		.amdhsa_user_sgpr_kernarg_preload_offset 0
		.amdhsa_user_sgpr_private_segment_size 0
		.amdhsa_uses_dynamic_stack 0
		.amdhsa_system_sgpr_private_segment_wavefront_offset 0
		.amdhsa_system_sgpr_workgroup_id_x 1
		.amdhsa_system_sgpr_workgroup_id_y 0
		.amdhsa_system_sgpr_workgroup_id_z 0
		.amdhsa_system_sgpr_workgroup_info 0
		.amdhsa_system_vgpr_workitem_id 0
		.amdhsa_next_free_vgpr 24
		.amdhsa_next_free_sgpr 49
		.amdhsa_accum_offset 24
		.amdhsa_reserve_vcc 1
		.amdhsa_reserve_flat_scratch 0
		.amdhsa_float_round_mode_32 0
		.amdhsa_float_round_mode_16_64 0
		.amdhsa_float_denorm_mode_32 3
		.amdhsa_float_denorm_mode_16_64 3
		.amdhsa_dx10_clamp 1
		.amdhsa_ieee_mode 1
		.amdhsa_fp16_overflow 0
		.amdhsa_tg_split 0
		.amdhsa_exception_fp_ieee_invalid_op 0
		.amdhsa_exception_fp_denorm_src 0
		.amdhsa_exception_fp_ieee_div_zero 0
		.amdhsa_exception_fp_ieee_overflow 0
		.amdhsa_exception_fp_ieee_underflow 0
		.amdhsa_exception_fp_ieee_inexact 0
		.amdhsa_exception_int_div_zero 0
	.end_amdhsa_kernel
	.section	.text._ZN2at4cuda17kernelHistogram1DIlslLi1ELi2ELin1ELNS0_23CUDAHistogramMemoryTypeE0EZNS0_21CUDA_tensor_histogramIlsLb0EEEbNS_6TensorES4_S4_lNS_14AccumulateTypeIT0_Lb1EE4typeES8_NS0_13TensorArgTypeES9_S9_EUllE_EEvNS0_6detail10TensorInfoIT_T1_EESF_NSC_IKS6_SE_EElS8_S8_SE_T6_,"axG",@progbits,_ZN2at4cuda17kernelHistogram1DIlslLi1ELi2ELin1ELNS0_23CUDAHistogramMemoryTypeE0EZNS0_21CUDA_tensor_histogramIlsLb0EEEbNS_6TensorES4_S4_lNS_14AccumulateTypeIT0_Lb1EE4typeES8_NS0_13TensorArgTypeES9_S9_EUllE_EEvNS0_6detail10TensorInfoIT_T1_EESF_NSC_IKS6_SE_EElS8_S8_SE_T6_,comdat
.Lfunc_end52:
	.size	_ZN2at4cuda17kernelHistogram1DIlslLi1ELi2ELin1ELNS0_23CUDAHistogramMemoryTypeE0EZNS0_21CUDA_tensor_histogramIlsLb0EEEbNS_6TensorES4_S4_lNS_14AccumulateTypeIT0_Lb1EE4typeES8_NS0_13TensorArgTypeES9_S9_EUllE_EEvNS0_6detail10TensorInfoIT_T1_EESF_NSC_IKS6_SE_EElS8_S8_SE_T6_, .Lfunc_end52-_ZN2at4cuda17kernelHistogram1DIlslLi1ELi2ELin1ELNS0_23CUDAHistogramMemoryTypeE0EZNS0_21CUDA_tensor_histogramIlsLb0EEEbNS_6TensorES4_S4_lNS_14AccumulateTypeIT0_Lb1EE4typeES8_NS0_13TensorArgTypeES9_S9_EUllE_EEvNS0_6detail10TensorInfoIT_T1_EESF_NSC_IKS6_SE_EElS8_S8_SE_T6_
                                        ; -- End function
	.section	.AMDGPU.csdata,"",@progbits
; Kernel info:
; codeLenInByte = 2588
; NumSgprs: 53
; NumVgprs: 24
; NumAgprs: 0
; TotalNumVgprs: 24
; ScratchSize: 0
; MemoryBound: 0
; FloatMode: 240
; IeeeMode: 1
; LDSByteSize: 0 bytes/workgroup (compile time only)
; SGPRBlocks: 6
; VGPRBlocks: 2
; NumSGPRsForWavesPerEU: 53
; NumVGPRsForWavesPerEU: 24
; AccumOffset: 24
; Occupancy: 8
; WaveLimiterHint : 1
; COMPUTE_PGM_RSRC2:SCRATCH_EN: 0
; COMPUTE_PGM_RSRC2:USER_SGPR: 6
; COMPUTE_PGM_RSRC2:TRAP_HANDLER: 0
; COMPUTE_PGM_RSRC2:TGID_X_EN: 1
; COMPUTE_PGM_RSRC2:TGID_Y_EN: 0
; COMPUTE_PGM_RSRC2:TGID_Z_EN: 0
; COMPUTE_PGM_RSRC2:TIDIG_COMP_CNT: 0
; COMPUTE_PGM_RSRC3_GFX90A:ACCUM_OFFSET: 5
; COMPUTE_PGM_RSRC3_GFX90A:TG_SPLIT: 0
	.section	.text._ZN2at4cuda17kernelHistogram1DIlslLi1ELi2ELin1ELNS0_23CUDAHistogramMemoryTypeE1EZNS0_21CUDA_tensor_histogramIlsLb0EEEbNS_6TensorES4_S4_lNS_14AccumulateTypeIT0_Lb1EE4typeES8_NS0_13TensorArgTypeES9_S9_EUllE_EEvNS0_6detail10TensorInfoIT_T1_EESF_NSC_IKS6_SE_EElS8_S8_SE_T6_,"axG",@progbits,_ZN2at4cuda17kernelHistogram1DIlslLi1ELi2ELin1ELNS0_23CUDAHistogramMemoryTypeE1EZNS0_21CUDA_tensor_histogramIlsLb0EEEbNS_6TensorES4_S4_lNS_14AccumulateTypeIT0_Lb1EE4typeES8_NS0_13TensorArgTypeES9_S9_EUllE_EEvNS0_6detail10TensorInfoIT_T1_EESF_NSC_IKS6_SE_EElS8_S8_SE_T6_,comdat
	.protected	_ZN2at4cuda17kernelHistogram1DIlslLi1ELi2ELin1ELNS0_23CUDAHistogramMemoryTypeE1EZNS0_21CUDA_tensor_histogramIlsLb0EEEbNS_6TensorES4_S4_lNS_14AccumulateTypeIT0_Lb1EE4typeES8_NS0_13TensorArgTypeES9_S9_EUllE_EEvNS0_6detail10TensorInfoIT_T1_EESF_NSC_IKS6_SE_EElS8_S8_SE_T6_ ; -- Begin function _ZN2at4cuda17kernelHistogram1DIlslLi1ELi2ELin1ELNS0_23CUDAHistogramMemoryTypeE1EZNS0_21CUDA_tensor_histogramIlsLb0EEEbNS_6TensorES4_S4_lNS_14AccumulateTypeIT0_Lb1EE4typeES8_NS0_13TensorArgTypeES9_S9_EUllE_EEvNS0_6detail10TensorInfoIT_T1_EESF_NSC_IKS6_SE_EElS8_S8_SE_T6_
	.globl	_ZN2at4cuda17kernelHistogram1DIlslLi1ELi2ELin1ELNS0_23CUDAHistogramMemoryTypeE1EZNS0_21CUDA_tensor_histogramIlsLb0EEEbNS_6TensorES4_S4_lNS_14AccumulateTypeIT0_Lb1EE4typeES8_NS0_13TensorArgTypeES9_S9_EUllE_EEvNS0_6detail10TensorInfoIT_T1_EESF_NSC_IKS6_SE_EElS8_S8_SE_T6_
	.p2align	8
	.type	_ZN2at4cuda17kernelHistogram1DIlslLi1ELi2ELin1ELNS0_23CUDAHistogramMemoryTypeE1EZNS0_21CUDA_tensor_histogramIlsLb0EEEbNS_6TensorES4_S4_lNS_14AccumulateTypeIT0_Lb1EE4typeES8_NS0_13TensorArgTypeES9_S9_EUllE_EEvNS0_6detail10TensorInfoIT_T1_EESF_NSC_IKS6_SE_EElS8_S8_SE_T6_,@function
_ZN2at4cuda17kernelHistogram1DIlslLi1ELi2ELin1ELNS0_23CUDAHistogramMemoryTypeE1EZNS0_21CUDA_tensor_histogramIlsLb0EEEbNS_6TensorES4_S4_lNS_14AccumulateTypeIT0_Lb1EE4typeES8_NS0_13TensorArgTypeES9_S9_EUllE_EEvNS0_6detail10TensorInfoIT_T1_EESF_NSC_IKS6_SE_EElS8_S8_SE_T6_: ; @_ZN2at4cuda17kernelHistogram1DIlslLi1ELi2ELin1ELNS0_23CUDAHistogramMemoryTypeE1EZNS0_21CUDA_tensor_histogramIlsLb0EEEbNS_6TensorES4_S4_lNS_14AccumulateTypeIT0_Lb1EE4typeES8_NS0_13TensorArgTypeES9_S9_EUllE_EEvNS0_6detail10TensorInfoIT_T1_EESF_NSC_IKS6_SE_EElS8_S8_SE_T6_
; %bb.0:
	s_load_dword s2, s[4:5], 0x6ac
	s_load_dwordx8 s[8:15], s[4:5], 0x4e0
	s_add_u32 s0, s4, 0x6a0
	s_addc_u32 s1, s5, 0
	v_mov_b32_e32 v2, 0
	s_waitcnt lgkmcnt(0)
	s_and_b32 s2, s2, 0xffff
	s_mul_i32 s6, s6, s2
	v_add_u32_e32 v0, s6, v0
	v_mov_b32_e32 v1, v2
	v_cmp_gt_i64_e32 vcc, s[14:15], v[0:1]
	s_and_saveexec_b64 s[6:7], vcc
	s_cbranch_execz .LBB53_16
; %bb.1:
	s_load_dwordx2 s[6:7], s[4:5], 0x5d0
	s_load_dwordx2 s[16:17], s[4:5], 0x500
	s_load_dword s3, s[4:5], 0x4d8
	s_load_dwordx2 s[18:19], s[4:5], 0x0
	s_load_dwordx2 s[20:21], s[4:5], 0xd0
	s_load_dword s28, s[0:1], 0x0
	s_add_u32 s26, s4, 0x340
	s_addc_u32 s27, s5, 0
	s_mov_b32 s42, 0
	s_waitcnt lgkmcnt(0)
	s_cmp_gt_i32 s3, 1
	s_cselect_b64 s[0:1], -1, 0
	s_sub_u32 s33, s12, s10
	s_subb_u32 s40, s13, s11
	s_mul_i32 s41, s28, s2
	s_add_i32 s43, s3, 1
	s_add_i32 s2, s3, -1
	s_mov_b32 s3, s42
	s_load_dwordx2 s[22:23], s[4:5], 0x410
	s_load_dwordx2 s[24:25], s[4:5], 0x340
	s_lshl_b64 s[2:3], s[2:3], 3
	s_add_u32 s2, s2, s26
	s_addc_u32 s3, s3, s27
	s_add_u32 s4, s2, 8
	v_cndmask_b32_e64 v3, 0, 1, s[0:1]
	s_addc_u32 s5, s3, 0
	s_mov_b64 s[26:27], 0
	v_cmp_ne_u32_e64 s[0:1], 1, v3
	s_branch .LBB53_4
.LBB53_2:                               ;   in Loop: Header=BB53_4 Depth=1
	s_or_b64 exec, exec, s[2:3]
	v_mul_lo_u32 v3, v1, s6
	v_mul_lo_u32 v7, v0, s7
	v_mad_u64_u32 v[4:5], s[2:3], v0, s6, 0
	v_add3_u32 v5, v5, v7, v3
	v_lshlrev_b64 v[4:5], 3, v[4:5]
	v_mov_b32_e32 v3, s17
	v_add_co_u32_e32 v4, vcc, s16, v4
	v_addc_co_u32_e32 v5, vcc, v3, v5, vcc
	global_load_dwordx2 v[4:5], v[4:5], off
	v_ashrrev_i32_e32 v7, 31, v6
	v_cmp_eq_u64_e32 vcc, s[8:9], v[6:7]
	v_cndmask_b32_e64 v3, 0, 1, vcc
	v_sub_co_u32_e32 v3, vcc, v6, v3
	v_subbrev_co_u32_e32 v6, vcc, 0, v7, vcc
	v_mul_lo_u32 v8, v6, s20
	v_mul_lo_u32 v9, v3, s21
	v_mad_u64_u32 v[6:7], s[2:3], v3, s20, 0
	v_add3_u32 v7, v7, v9, v8
	v_lshlrev_b64 v[6:7], 3, v[6:7]
	v_mov_b32_e32 v3, s19
	v_add_co_u32_e32 v6, vcc, s18, v6
	v_addc_co_u32_e32 v7, vcc, v3, v7, vcc
	s_waitcnt vmcnt(0)
	global_atomic_add_x2 v[6:7], v[4:5], off
.LBB53_3:                               ;   in Loop: Header=BB53_4 Depth=1
	s_or_b64 exec, exec, s[28:29]
	v_mov_b32_e32 v3, s42
	v_add_co_u32_e32 v0, vcc, s41, v0
	v_addc_co_u32_e32 v1, vcc, v1, v3, vcc
	v_cmp_le_i64_e32 vcc, s[14:15], v[0:1]
	s_or_b64 s[26:27], vcc, s[26:27]
	s_andn2_b64 exec, exec, s[26:27]
	s_cbranch_execz .LBB53_16
.LBB53_4:                               ; =>This Loop Header: Depth=1
                                        ;     Child Loop BB53_5 Depth 2
	s_and_b64 vcc, exec, s[0:1]
	v_pk_mov_b32 v[4:5], 0, 0
	s_mov_b64 s[28:29], s[4:5]
	s_mov_b32 s44, s43
	v_pk_mov_b32 v[6:7], v[0:1], v[0:1] op_sel:[0,1]
	v_pk_mov_b32 v[8:9], v[0:1], v[0:1] op_sel:[0,1]
	s_cbranch_vccnz .LBB53_11
.LBB53_5:                               ;   Parent Loop BB53_4 Depth=1
                                        ; =>  This Inner Loop Header: Depth=2
	s_load_dwordx2 s[30:31], s[28:29], 0x0
                                        ; implicit-def: $vgpr8_vgpr9
	s_waitcnt lgkmcnt(0)
	v_or_b32_e32 v3, s31, v7
	v_cmp_ne_u64_e32 vcc, 0, v[2:3]
	s_and_saveexec_b64 s[2:3], vcc
	s_xor_b64 s[34:35], exec, s[2:3]
	s_cbranch_execz .LBB53_7
; %bb.6:                                ;   in Loop: Header=BB53_5 Depth=2
	s_ashr_i32 s36, s31, 31
	s_add_u32 s2, s30, s36
	s_mov_b32 s37, s36
	s_addc_u32 s3, s31, s36
	s_xor_b64 s[38:39], s[2:3], s[36:37]
	v_cvt_f32_u32_e32 v3, s38
	v_cvt_f32_u32_e32 v8, s39
	s_sub_u32 s2, 0, s38
	s_subb_u32 s3, 0, s39
	v_mac_f32_e32 v3, 0x4f800000, v8
	v_rcp_f32_e32 v3, v3
	v_mul_f32_e32 v3, 0x5f7ffffc, v3
	v_mul_f32_e32 v8, 0x2f800000, v3
	v_trunc_f32_e32 v8, v8
	v_mac_f32_e32 v3, 0xcf800000, v8
	v_cvt_u32_f32_e32 v8, v8
	v_cvt_u32_f32_e32 v3, v3
	v_mul_lo_u32 v9, s2, v8
	v_mul_hi_u32 v11, s2, v3
	v_mul_lo_u32 v10, s3, v3
	v_add_u32_e32 v9, v11, v9
	v_mul_lo_u32 v12, s2, v3
	v_add_u32_e32 v9, v9, v10
	v_mul_lo_u32 v11, v3, v9
	v_mul_hi_u32 v13, v3, v12
	v_mul_hi_u32 v10, v3, v9
	v_add_co_u32_e32 v11, vcc, v13, v11
	v_addc_co_u32_e32 v10, vcc, 0, v10, vcc
	v_mul_hi_u32 v14, v8, v12
	v_mul_lo_u32 v12, v8, v12
	v_add_co_u32_e32 v11, vcc, v11, v12
	v_mul_hi_u32 v13, v8, v9
	v_addc_co_u32_e32 v10, vcc, v10, v14, vcc
	v_addc_co_u32_e32 v11, vcc, 0, v13, vcc
	v_mul_lo_u32 v9, v8, v9
	v_add_co_u32_e32 v9, vcc, v10, v9
	v_addc_co_u32_e32 v10, vcc, 0, v11, vcc
	v_add_co_u32_e32 v3, vcc, v3, v9
	v_addc_co_u32_e32 v8, vcc, v8, v10, vcc
	v_mul_lo_u32 v9, s2, v8
	v_mul_hi_u32 v10, s2, v3
	v_add_u32_e32 v9, v10, v9
	v_mul_lo_u32 v10, s3, v3
	v_add_u32_e32 v9, v9, v10
	v_mul_lo_u32 v11, s2, v3
	v_mul_hi_u32 v12, v8, v11
	v_mul_lo_u32 v13, v8, v11
	v_mul_lo_u32 v15, v3, v9
	v_mul_hi_u32 v11, v3, v11
	v_mul_hi_u32 v14, v3, v9
	v_add_co_u32_e32 v11, vcc, v11, v15
	v_addc_co_u32_e32 v14, vcc, 0, v14, vcc
	v_add_co_u32_e32 v11, vcc, v11, v13
	v_mul_hi_u32 v10, v8, v9
	v_addc_co_u32_e32 v11, vcc, v14, v12, vcc
	v_addc_co_u32_e32 v10, vcc, 0, v10, vcc
	v_mul_lo_u32 v9, v8, v9
	v_add_co_u32_e32 v9, vcc, v11, v9
	v_addc_co_u32_e32 v10, vcc, 0, v10, vcc
	v_add_co_u32_e32 v3, vcc, v3, v9
	v_addc_co_u32_e32 v10, vcc, v8, v10, vcc
	v_ashrrev_i32_e32 v12, 31, v7
	v_add_co_u32_e32 v8, vcc, v6, v12
	v_addc_co_u32_e32 v9, vcc, v7, v12, vcc
	v_xor_b32_e32 v14, v8, v12
	v_xor_b32_e32 v13, v9, v12
	v_mad_u64_u32 v[8:9], s[2:3], v14, v10, 0
	v_mul_hi_u32 v11, v14, v3
	v_add_co_u32_e32 v15, vcc, v11, v8
	v_addc_co_u32_e32 v16, vcc, 0, v9, vcc
	v_mad_u64_u32 v[8:9], s[2:3], v13, v10, 0
	v_mad_u64_u32 v[10:11], s[2:3], v13, v3, 0
	v_add_co_u32_e32 v3, vcc, v15, v10
	v_addc_co_u32_e32 v3, vcc, v16, v11, vcc
	v_addc_co_u32_e32 v9, vcc, 0, v9, vcc
	v_add_co_u32_e32 v3, vcc, v3, v8
	v_addc_co_u32_e32 v10, vcc, 0, v9, vcc
	v_mul_lo_u32 v11, s39, v3
	v_mul_lo_u32 v15, s38, v10
	v_mad_u64_u32 v[8:9], s[2:3], s38, v3, 0
	v_add3_u32 v9, v9, v15, v11
	v_sub_u32_e32 v11, v13, v9
	v_mov_b32_e32 v15, s39
	v_sub_co_u32_e32 v8, vcc, v14, v8
	v_subb_co_u32_e64 v11, s[2:3], v11, v15, vcc
	v_subrev_co_u32_e64 v14, s[2:3], s38, v8
	v_subbrev_co_u32_e64 v11, s[2:3], 0, v11, s[2:3]
	v_cmp_le_u32_e64 s[2:3], s39, v11
	v_cndmask_b32_e64 v15, 0, -1, s[2:3]
	v_cmp_le_u32_e64 s[2:3], s38, v14
	v_cndmask_b32_e64 v14, 0, -1, s[2:3]
	v_cmp_eq_u32_e64 s[2:3], s39, v11
	v_cndmask_b32_e64 v11, v15, v14, s[2:3]
	v_add_co_u32_e64 v14, s[2:3], 2, v3
	v_subb_co_u32_e32 v9, vcc, v13, v9, vcc
	v_addc_co_u32_e64 v15, s[2:3], 0, v10, s[2:3]
	v_cmp_le_u32_e32 vcc, s39, v9
	v_add_co_u32_e64 v16, s[2:3], 1, v3
	v_cndmask_b32_e64 v13, 0, -1, vcc
	v_cmp_le_u32_e32 vcc, s38, v8
	v_addc_co_u32_e64 v17, s[2:3], 0, v10, s[2:3]
	v_cndmask_b32_e64 v8, 0, -1, vcc
	v_cmp_eq_u32_e32 vcc, s39, v9
	v_cmp_ne_u32_e64 s[2:3], 0, v11
	v_cndmask_b32_e32 v8, v13, v8, vcc
	v_cmp_ne_u32_e32 vcc, 0, v8
	v_cndmask_b32_e64 v9, v16, v14, s[2:3]
	v_cndmask_b32_e64 v11, v17, v15, s[2:3]
	v_cndmask_b32_e32 v3, v3, v9, vcc
	v_xor_b32_e32 v9, s36, v12
	v_cndmask_b32_e32 v8, v10, v11, vcc
	v_xor_b32_e32 v3, v3, v9
	v_xor_b32_e32 v10, v8, v9
	v_sub_co_u32_e32 v8, vcc, v3, v9
	v_subb_co_u32_e32 v9, vcc, v10, v9, vcc
.LBB53_7:                               ;   in Loop: Header=BB53_5 Depth=2
	s_andn2_saveexec_b64 s[2:3], s[34:35]
	s_cbranch_execz .LBB53_9
; %bb.8:                                ;   in Loop: Header=BB53_5 Depth=2
	v_cvt_f32_u32_e32 v3, s30
	s_sub_i32 s34, 0, s30
	v_rcp_iflag_f32_e32 v3, v3
	v_mul_f32_e32 v3, 0x4f7ffffe, v3
	v_cvt_u32_f32_e32 v3, v3
	v_mul_lo_u32 v8, s34, v3
	v_mul_hi_u32 v8, v3, v8
	v_add_u32_e32 v3, v3, v8
	v_mul_hi_u32 v3, v6, v3
	v_mul_lo_u32 v8, v3, s30
	v_sub_u32_e32 v8, v6, v8
	v_add_u32_e32 v9, 1, v3
	v_subrev_u32_e32 v10, s30, v8
	v_cmp_le_u32_e32 vcc, s30, v8
	v_cndmask_b32_e32 v8, v8, v10, vcc
	v_cndmask_b32_e32 v3, v3, v9, vcc
	v_add_u32_e32 v9, 1, v3
	v_cmp_le_u32_e32 vcc, s30, v8
	v_cndmask_b32_e32 v8, v3, v9, vcc
	v_mov_b32_e32 v9, v2
.LBB53_9:                               ;   in Loop: Header=BB53_5 Depth=2
	s_or_b64 exec, exec, s[2:3]
	v_mad_u64_u32 v[10:11], s[2:3], v8, s30, 0
	s_load_dwordx2 s[2:3], s[28:29], 0xc8
	v_mul_lo_u32 v3, v9, s30
	v_mul_lo_u32 v12, v8, s31
	v_add3_u32 v3, v11, v12, v3
	v_sub_co_u32_e32 v6, vcc, v6, v10
	s_add_i32 s44, s44, -1
	v_subb_co_u32_e32 v3, vcc, v7, v3, vcc
	s_add_u32 s28, s28, -8
	s_waitcnt lgkmcnt(0)
	v_mul_lo_u32 v3, s2, v3
	v_mul_lo_u32 v7, s3, v6
	v_mad_u64_u32 v[4:5], s[2:3], s2, v6, v[4:5]
	s_addc_u32 s29, s29, -1
	s_cmp_gt_u32 s44, 2
	v_add3_u32 v5, v7, v5, v3
	s_cbranch_scc0 .LBB53_11
; %bb.10:                               ;   in Loop: Header=BB53_5 Depth=2
	v_pk_mov_b32 v[6:7], v[8:9], v[8:9] op_sel:[0,1]
	s_branch .LBB53_5
.LBB53_11:                              ;   in Loop: Header=BB53_4 Depth=1
	s_waitcnt lgkmcnt(0)
	v_mul_lo_u32 v3, s23, v8
	v_mul_lo_u32 v9, s22, v9
	v_mad_u64_u32 v[6:7], s[2:3], s22, v8, 0
	v_add3_u32 v7, v7, v9, v3
	v_lshlrev_b64 v[6:7], 1, v[6:7]
	v_mov_b32_e32 v3, s25
	v_add_co_u32_e32 v6, vcc, s24, v6
	v_addc_co_u32_e32 v3, vcc, v3, v7, vcc
	v_lshlrev_b64 v[4:5], 1, v[4:5]
	v_add_co_u32_e32 v4, vcc, v6, v4
	v_addc_co_u32_e32 v5, vcc, v3, v5, vcc
	global_load_ushort v3, v[4:5], off
	s_waitcnt vmcnt(0)
	v_bfe_i32 v4, v3, 0, 16
	v_ashrrev_i32_e32 v5, 31, v4
	v_cmp_le_i64_e32 vcc, s[10:11], v[4:5]
	v_cmp_ge_i64_e64 s[2:3], s[12:13], v[4:5]
	s_and_b64 s[2:3], vcc, s[2:3]
	s_and_saveexec_b64 s[28:29], s[2:3]
	s_cbranch_execz .LBB53_3
; %bb.12:                               ;   in Loop: Header=BB53_4 Depth=1
	v_mov_b32_e32 v3, s11
	v_subrev_co_u32_e32 v4, vcc, s10, v4
	v_subb_co_u32_e32 v3, vcc, v5, v3, vcc
	v_mul_lo_u32 v3, v3, s8
	v_mul_lo_u32 v6, v4, s9
	v_mad_u64_u32 v[4:5], s[2:3], v4, s8, 0
	v_add3_u32 v5, v5, v6, v3
	v_or_b32_e32 v3, s40, v5
	v_cmp_ne_u64_e32 vcc, 0, v[2:3]
                                        ; implicit-def: $vgpr6_vgpr7
	s_and_saveexec_b64 s[2:3], vcc
	s_xor_b64 s[30:31], exec, s[2:3]
	s_cbranch_execz .LBB53_14
; %bb.13:                               ;   in Loop: Header=BB53_4 Depth=1
	s_ashr_i32 s34, s40, 31
	s_add_u32 s2, s33, s34
	s_mov_b32 s35, s34
	s_addc_u32 s3, s40, s34
	s_xor_b64 s[36:37], s[2:3], s[34:35]
	v_cvt_f32_u32_e32 v3, s36
	v_cvt_f32_u32_e32 v6, s37
	s_sub_u32 s2, 0, s36
	s_subb_u32 s3, 0, s37
	v_mac_f32_e32 v3, 0x4f800000, v6
	v_rcp_f32_e32 v3, v3
	v_mul_f32_e32 v3, 0x5f7ffffc, v3
	v_mul_f32_e32 v6, 0x2f800000, v3
	v_trunc_f32_e32 v6, v6
	v_mac_f32_e32 v3, 0xcf800000, v6
	v_cvt_u32_f32_e32 v6, v6
	v_cvt_u32_f32_e32 v3, v3
	v_mul_lo_u32 v7, s2, v6
	v_mul_hi_u32 v9, s2, v3
	v_mul_lo_u32 v8, s3, v3
	v_add_u32_e32 v7, v9, v7
	v_mul_lo_u32 v10, s2, v3
	v_add_u32_e32 v7, v7, v8
	v_mul_lo_u32 v9, v3, v7
	v_mul_hi_u32 v11, v3, v10
	v_mul_hi_u32 v8, v3, v7
	v_add_co_u32_e32 v9, vcc, v11, v9
	v_addc_co_u32_e32 v8, vcc, 0, v8, vcc
	v_mul_hi_u32 v12, v6, v10
	v_mul_lo_u32 v10, v6, v10
	v_add_co_u32_e32 v9, vcc, v9, v10
	v_mul_hi_u32 v11, v6, v7
	v_addc_co_u32_e32 v8, vcc, v8, v12, vcc
	v_addc_co_u32_e32 v9, vcc, 0, v11, vcc
	v_mul_lo_u32 v7, v6, v7
	v_add_co_u32_e32 v7, vcc, v8, v7
	v_addc_co_u32_e32 v8, vcc, 0, v9, vcc
	v_add_co_u32_e32 v3, vcc, v3, v7
	v_addc_co_u32_e32 v6, vcc, v6, v8, vcc
	v_mul_lo_u32 v7, s2, v6
	v_mul_hi_u32 v8, s2, v3
	v_add_u32_e32 v7, v8, v7
	v_mul_lo_u32 v8, s3, v3
	v_add_u32_e32 v7, v7, v8
	v_mul_lo_u32 v9, s2, v3
	v_mul_hi_u32 v10, v6, v9
	v_mul_lo_u32 v11, v6, v9
	v_mul_lo_u32 v13, v3, v7
	v_mul_hi_u32 v9, v3, v9
	v_mul_hi_u32 v12, v3, v7
	v_add_co_u32_e32 v9, vcc, v9, v13
	v_addc_co_u32_e32 v12, vcc, 0, v12, vcc
	v_add_co_u32_e32 v9, vcc, v9, v11
	v_mul_hi_u32 v8, v6, v7
	v_addc_co_u32_e32 v9, vcc, v12, v10, vcc
	v_addc_co_u32_e32 v8, vcc, 0, v8, vcc
	v_mul_lo_u32 v7, v6, v7
	v_add_co_u32_e32 v7, vcc, v9, v7
	v_addc_co_u32_e32 v8, vcc, 0, v8, vcc
	v_add_co_u32_e32 v3, vcc, v3, v7
	v_addc_co_u32_e32 v6, vcc, v6, v8, vcc
	v_ashrrev_i32_e32 v8, 31, v5
	v_add_co_u32_e32 v4, vcc, v4, v8
	v_addc_co_u32_e32 v5, vcc, v5, v8, vcc
	v_xor_b32_e32 v10, v4, v8
	v_xor_b32_e32 v9, v5, v8
	v_mad_u64_u32 v[4:5], s[2:3], v10, v6, 0
	v_mul_hi_u32 v7, v10, v3
	v_add_co_u32_e32 v11, vcc, v7, v4
	v_addc_co_u32_e32 v12, vcc, 0, v5, vcc
	v_mad_u64_u32 v[4:5], s[2:3], v9, v6, 0
	v_mad_u64_u32 v[6:7], s[2:3], v9, v3, 0
	v_add_co_u32_e32 v3, vcc, v11, v6
	v_addc_co_u32_e32 v3, vcc, v12, v7, vcc
	v_addc_co_u32_e32 v5, vcc, 0, v5, vcc
	v_add_co_u32_e32 v3, vcc, v3, v4
	v_addc_co_u32_e32 v4, vcc, 0, v5, vcc
	v_mul_lo_u32 v6, s37, v3
	v_mul_lo_u32 v7, s36, v4
	v_mad_u64_u32 v[4:5], s[2:3], s36, v3, 0
	v_add3_u32 v5, v5, v7, v6
	v_sub_u32_e32 v6, v9, v5
	v_mov_b32_e32 v7, s37
	v_sub_co_u32_e32 v4, vcc, v10, v4
	v_subb_co_u32_e64 v6, s[2:3], v6, v7, vcc
	v_subrev_co_u32_e64 v7, s[2:3], s36, v4
	v_subbrev_co_u32_e64 v6, s[2:3], 0, v6, s[2:3]
	v_cmp_le_u32_e64 s[2:3], s37, v6
	v_subb_co_u32_e32 v5, vcc, v9, v5, vcc
	v_cndmask_b32_e64 v10, 0, -1, s[2:3]
	v_cmp_le_u32_e64 s[2:3], s36, v7
	v_cmp_le_u32_e32 vcc, s37, v5
	v_cndmask_b32_e64 v7, 0, -1, s[2:3]
	v_cmp_eq_u32_e64 s[2:3], s37, v6
	v_cndmask_b32_e64 v9, 0, -1, vcc
	v_cmp_le_u32_e32 vcc, s36, v4
	v_cndmask_b32_e64 v6, v10, v7, s[2:3]
	v_cndmask_b32_e64 v4, 0, -1, vcc
	v_cmp_eq_u32_e32 vcc, s37, v5
	v_add_co_u32_e64 v7, s[2:3], 2, v3
	v_add_co_u32_e64 v10, s[2:3], 1, v3
	v_cndmask_b32_e32 v4, v9, v4, vcc
	v_cmp_ne_u32_e32 vcc, 0, v6
	v_cndmask_b32_e32 v5, v10, v7, vcc
	v_cmp_ne_u32_e32 vcc, 0, v4
	v_cndmask_b32_e32 v3, v3, v5, vcc
	v_xor_b32_e32 v4, s34, v8
	v_xor_b32_e32 v3, v3, v4
	v_sub_co_u32_e32 v6, vcc, v3, v4
                                        ; implicit-def: $vgpr4_vgpr5
.LBB53_14:                              ;   in Loop: Header=BB53_4 Depth=1
	s_andn2_saveexec_b64 s[2:3], s[30:31]
	s_cbranch_execz .LBB53_2
; %bb.15:                               ;   in Loop: Header=BB53_4 Depth=1
	v_cvt_f32_u32_e32 v3, s33
	s_sub_i32 s30, 0, s33
	v_rcp_iflag_f32_e32 v3, v3
	v_mul_f32_e32 v3, 0x4f7ffffe, v3
	v_cvt_u32_f32_e32 v3, v3
	v_mul_lo_u32 v5, s30, v3
	v_mul_hi_u32 v5, v3, v5
	v_add_u32_e32 v3, v3, v5
	v_mul_hi_u32 v3, v4, v3
	v_mul_lo_u32 v5, v3, s33
	v_sub_u32_e32 v4, v4, v5
	v_add_u32_e32 v6, 1, v3
	v_subrev_u32_e32 v5, s33, v4
	v_cmp_le_u32_e32 vcc, s33, v4
	v_cndmask_b32_e32 v4, v4, v5, vcc
	v_cndmask_b32_e32 v3, v3, v6, vcc
	v_add_u32_e32 v5, 1, v3
	v_cmp_le_u32_e32 vcc, s33, v4
	v_cndmask_b32_e32 v6, v3, v5, vcc
	s_branch .LBB53_2
.LBB53_16:
	s_endpgm
	.section	.rodata,"a",@progbits
	.p2align	6, 0x0
	.amdhsa_kernel _ZN2at4cuda17kernelHistogram1DIlslLi1ELi2ELin1ELNS0_23CUDAHistogramMemoryTypeE1EZNS0_21CUDA_tensor_histogramIlsLb0EEEbNS_6TensorES4_S4_lNS_14AccumulateTypeIT0_Lb1EE4typeES8_NS0_13TensorArgTypeES9_S9_EUllE_EEvNS0_6detail10TensorInfoIT_T1_EESF_NSC_IKS6_SE_EElS8_S8_SE_T6_
		.amdhsa_group_segment_fixed_size 0
		.amdhsa_private_segment_fixed_size 0
		.amdhsa_kernarg_size 1952
		.amdhsa_user_sgpr_count 6
		.amdhsa_user_sgpr_private_segment_buffer 1
		.amdhsa_user_sgpr_dispatch_ptr 0
		.amdhsa_user_sgpr_queue_ptr 0
		.amdhsa_user_sgpr_kernarg_segment_ptr 1
		.amdhsa_user_sgpr_dispatch_id 0
		.amdhsa_user_sgpr_flat_scratch_init 0
		.amdhsa_user_sgpr_kernarg_preload_length 0
		.amdhsa_user_sgpr_kernarg_preload_offset 0
		.amdhsa_user_sgpr_private_segment_size 0
		.amdhsa_uses_dynamic_stack 0
		.amdhsa_system_sgpr_private_segment_wavefront_offset 0
		.amdhsa_system_sgpr_workgroup_id_x 1
		.amdhsa_system_sgpr_workgroup_id_y 0
		.amdhsa_system_sgpr_workgroup_id_z 0
		.amdhsa_system_sgpr_workgroup_info 0
		.amdhsa_system_vgpr_workitem_id 0
		.amdhsa_next_free_vgpr 18
		.amdhsa_next_free_sgpr 45
		.amdhsa_accum_offset 20
		.amdhsa_reserve_vcc 1
		.amdhsa_reserve_flat_scratch 0
		.amdhsa_float_round_mode_32 0
		.amdhsa_float_round_mode_16_64 0
		.amdhsa_float_denorm_mode_32 3
		.amdhsa_float_denorm_mode_16_64 3
		.amdhsa_dx10_clamp 1
		.amdhsa_ieee_mode 1
		.amdhsa_fp16_overflow 0
		.amdhsa_tg_split 0
		.amdhsa_exception_fp_ieee_invalid_op 0
		.amdhsa_exception_fp_denorm_src 0
		.amdhsa_exception_fp_ieee_div_zero 0
		.amdhsa_exception_fp_ieee_overflow 0
		.amdhsa_exception_fp_ieee_underflow 0
		.amdhsa_exception_fp_ieee_inexact 0
		.amdhsa_exception_int_div_zero 0
	.end_amdhsa_kernel
	.section	.text._ZN2at4cuda17kernelHistogram1DIlslLi1ELi2ELin1ELNS0_23CUDAHistogramMemoryTypeE1EZNS0_21CUDA_tensor_histogramIlsLb0EEEbNS_6TensorES4_S4_lNS_14AccumulateTypeIT0_Lb1EE4typeES8_NS0_13TensorArgTypeES9_S9_EUllE_EEvNS0_6detail10TensorInfoIT_T1_EESF_NSC_IKS6_SE_EElS8_S8_SE_T6_,"axG",@progbits,_ZN2at4cuda17kernelHistogram1DIlslLi1ELi2ELin1ELNS0_23CUDAHistogramMemoryTypeE1EZNS0_21CUDA_tensor_histogramIlsLb0EEEbNS_6TensorES4_S4_lNS_14AccumulateTypeIT0_Lb1EE4typeES8_NS0_13TensorArgTypeES9_S9_EUllE_EEvNS0_6detail10TensorInfoIT_T1_EESF_NSC_IKS6_SE_EElS8_S8_SE_T6_,comdat
.Lfunc_end53:
	.size	_ZN2at4cuda17kernelHistogram1DIlslLi1ELi2ELin1ELNS0_23CUDAHistogramMemoryTypeE1EZNS0_21CUDA_tensor_histogramIlsLb0EEEbNS_6TensorES4_S4_lNS_14AccumulateTypeIT0_Lb1EE4typeES8_NS0_13TensorArgTypeES9_S9_EUllE_EEvNS0_6detail10TensorInfoIT_T1_EESF_NSC_IKS6_SE_EElS8_S8_SE_T6_, .Lfunc_end53-_ZN2at4cuda17kernelHistogram1DIlslLi1ELi2ELin1ELNS0_23CUDAHistogramMemoryTypeE1EZNS0_21CUDA_tensor_histogramIlsLb0EEEbNS_6TensorES4_S4_lNS_14AccumulateTypeIT0_Lb1EE4typeES8_NS0_13TensorArgTypeES9_S9_EUllE_EEvNS0_6detail10TensorInfoIT_T1_EESF_NSC_IKS6_SE_EElS8_S8_SE_T6_
                                        ; -- End function
	.section	.AMDGPU.csdata,"",@progbits
; Kernel info:
; codeLenInByte = 2300
; NumSgprs: 49
; NumVgprs: 18
; NumAgprs: 0
; TotalNumVgprs: 18
; ScratchSize: 0
; MemoryBound: 0
; FloatMode: 240
; IeeeMode: 1
; LDSByteSize: 0 bytes/workgroup (compile time only)
; SGPRBlocks: 6
; VGPRBlocks: 2
; NumSGPRsForWavesPerEU: 49
; NumVGPRsForWavesPerEU: 18
; AccumOffset: 20
; Occupancy: 8
; WaveLimiterHint : 1
; COMPUTE_PGM_RSRC2:SCRATCH_EN: 0
; COMPUTE_PGM_RSRC2:USER_SGPR: 6
; COMPUTE_PGM_RSRC2:TRAP_HANDLER: 0
; COMPUTE_PGM_RSRC2:TGID_X_EN: 1
; COMPUTE_PGM_RSRC2:TGID_Y_EN: 0
; COMPUTE_PGM_RSRC2:TGID_Z_EN: 0
; COMPUTE_PGM_RSRC2:TIDIG_COMP_CNT: 0
; COMPUTE_PGM_RSRC3_GFX90A:ACCUM_OFFSET: 4
; COMPUTE_PGM_RSRC3_GFX90A:TG_SPLIT: 0
	.section	.text._ZN2at4cuda17kernelHistogram1DIlslLi1ELi2ELin1ELNS0_23CUDAHistogramMemoryTypeE0EZNS0_21CUDA_tensor_histogramIlsLb0EEEbNS_6TensorES4_S4_lNS_14AccumulateTypeIT0_Lb1EE4typeES8_NS0_13TensorArgTypeES9_S9_EUllE0_EEvNS0_6detail10TensorInfoIT_T1_EESF_NSC_IKS6_SE_EElS8_S8_SE_T6_,"axG",@progbits,_ZN2at4cuda17kernelHistogram1DIlslLi1ELi2ELin1ELNS0_23CUDAHistogramMemoryTypeE0EZNS0_21CUDA_tensor_histogramIlsLb0EEEbNS_6TensorES4_S4_lNS_14AccumulateTypeIT0_Lb1EE4typeES8_NS0_13TensorArgTypeES9_S9_EUllE0_EEvNS0_6detail10TensorInfoIT_T1_EESF_NSC_IKS6_SE_EElS8_S8_SE_T6_,comdat
	.protected	_ZN2at4cuda17kernelHistogram1DIlslLi1ELi2ELin1ELNS0_23CUDAHistogramMemoryTypeE0EZNS0_21CUDA_tensor_histogramIlsLb0EEEbNS_6TensorES4_S4_lNS_14AccumulateTypeIT0_Lb1EE4typeES8_NS0_13TensorArgTypeES9_S9_EUllE0_EEvNS0_6detail10TensorInfoIT_T1_EESF_NSC_IKS6_SE_EElS8_S8_SE_T6_ ; -- Begin function _ZN2at4cuda17kernelHistogram1DIlslLi1ELi2ELin1ELNS0_23CUDAHistogramMemoryTypeE0EZNS0_21CUDA_tensor_histogramIlsLb0EEEbNS_6TensorES4_S4_lNS_14AccumulateTypeIT0_Lb1EE4typeES8_NS0_13TensorArgTypeES9_S9_EUllE0_EEvNS0_6detail10TensorInfoIT_T1_EESF_NSC_IKS6_SE_EElS8_S8_SE_T6_
	.globl	_ZN2at4cuda17kernelHistogram1DIlslLi1ELi2ELin1ELNS0_23CUDAHistogramMemoryTypeE0EZNS0_21CUDA_tensor_histogramIlsLb0EEEbNS_6TensorES4_S4_lNS_14AccumulateTypeIT0_Lb1EE4typeES8_NS0_13TensorArgTypeES9_S9_EUllE0_EEvNS0_6detail10TensorInfoIT_T1_EESF_NSC_IKS6_SE_EElS8_S8_SE_T6_
	.p2align	8
	.type	_ZN2at4cuda17kernelHistogram1DIlslLi1ELi2ELin1ELNS0_23CUDAHistogramMemoryTypeE0EZNS0_21CUDA_tensor_histogramIlsLb0EEEbNS_6TensorES4_S4_lNS_14AccumulateTypeIT0_Lb1EE4typeES8_NS0_13TensorArgTypeES9_S9_EUllE0_EEvNS0_6detail10TensorInfoIT_T1_EESF_NSC_IKS6_SE_EElS8_S8_SE_T6_,@function
_ZN2at4cuda17kernelHistogram1DIlslLi1ELi2ELin1ELNS0_23CUDAHistogramMemoryTypeE0EZNS0_21CUDA_tensor_histogramIlsLb0EEEbNS_6TensorES4_S4_lNS_14AccumulateTypeIT0_Lb1EE4typeES8_NS0_13TensorArgTypeES9_S9_EUllE0_EEvNS0_6detail10TensorInfoIT_T1_EESF_NSC_IKS6_SE_EElS8_S8_SE_T6_: ; @_ZN2at4cuda17kernelHistogram1DIlslLi1ELi2ELin1ELNS0_23CUDAHistogramMemoryTypeE0EZNS0_21CUDA_tensor_histogramIlsLb0EEEbNS_6TensorES4_S4_lNS_14AccumulateTypeIT0_Lb1EE4typeES8_NS0_13TensorArgTypeES9_S9_EUllE0_EEvNS0_6detail10TensorInfoIT_T1_EESF_NSC_IKS6_SE_EElS8_S8_SE_T6_
; %bb.0:
	s_load_dwordx4 s[16:19], s[4:5], 0x0
	v_mov_b32_e32 v1, 0
	s_add_u32 s2, s4, 0x508
	s_addc_u32 s3, s5, 0
                                        ; implicit-def: $sgpr7
                                        ; implicit-def: $sgpr10
	s_waitcnt lgkmcnt(0)
	v_cmp_gt_i64_e64 s[0:1], s[18:19], v[0:1]
	v_cmp_le_i64_e32 vcc, s[18:19], v[0:1]
	s_and_saveexec_b64 s[8:9], vcc
	s_xor_b64 s[8:9], exec, s[8:9]
	s_cbranch_execz .LBB54_2
; %bb.1:
	s_load_dword s7, s[2:3], 0xc
	s_waitcnt lgkmcnt(0)
	s_and_b32 s10, s7, 0xffff
.LBB54_2:
	s_or_saveexec_b64 s[8:9], s[8:9]
	s_load_dwordx2 s[20:21], s[4:5], 0xd0
	v_mov_b32_e32 v7, s7
	v_mov_b32_e32 v15, s10
	v_lshl_add_u32 v14, v0, 3, 0
	s_xor_b64 exec, exec, s[8:9]
	s_cbranch_execz .LBB54_6
; %bb.3:
	s_load_dword s7, s[2:3], 0xc
	s_mov_b32 s14, 0
	v_mov_b32_e32 v2, 0
	v_lshl_add_u32 v6, v0, 3, 0
	s_mov_b64 s[10:11], 0
	s_waitcnt lgkmcnt(0)
	s_and_b32 s12, s7, 0xffff
	s_lshl_b32 s13, s12, 3
	v_mov_b32_e32 v3, v2
	v_mov_b32_e32 v7, s14
	v_pk_mov_b32 v[4:5], v[0:1], v[0:1] op_sel:[0,1]
.LBB54_4:                               ; =>This Inner Loop Header: Depth=1
	v_add_co_u32_e32 v4, vcc, s12, v4
	v_addc_co_u32_e32 v5, vcc, v5, v7, vcc
	v_cmp_le_i64_e32 vcc, s[18:19], v[4:5]
	ds_write_b64 v6, v[2:3]
	s_or_b64 s[10:11], vcc, s[10:11]
	v_add_u32_e32 v6, s13, v6
	s_andn2_b64 exec, exec, s[10:11]
	s_cbranch_execnz .LBB54_4
; %bb.5:
	s_or_b64 exec, exec, s[10:11]
	v_mov_b32_e32 v7, s7
	v_mov_b32_e32 v15, s12
.LBB54_6:
	s_or_b64 exec, exec, s[8:9]
	s_load_dwordx8 s[8:15], s[4:5], 0x4e0
	v_mad_u64_u32 v[2:3], s[6:7], s6, v15, v[0:1]
	v_mov_b32_e32 v4, 0
	v_mov_b32_e32 v3, v4
	s_waitcnt lgkmcnt(0)
	v_cmp_gt_i64_e32 vcc, s[14:15], v[2:3]
	s_barrier
	s_and_saveexec_b64 s[6:7], vcc
	s_cbranch_execz .LBB54_22
; %bb.7:
	s_load_dword s26, s[4:5], 0x4d8
	s_load_dwordx2 s[22:23], s[4:5], 0x410
	s_load_dwordx2 s[24:25], s[4:5], 0x340
	s_add_u32 s27, s4, 0x340
	s_addc_u32 s29, s5, 0
	s_waitcnt lgkmcnt(0)
	s_cmp_gt_i32 s26, 1
	s_load_dword s28, s[2:3], 0x0
	s_cselect_b64 s[2:3], -1, 0
	s_sub_u32 s33, s12, s10
	s_subb_u32 s42, s13, s11
	s_mov_b32 s5, 0
	s_add_i32 s4, s26, -1
	s_add_i32 s43, s26, 1
	s_lshl_b64 s[4:5], s[4:5], 3
	s_add_u32 s4, s4, s27
	s_addc_u32 s5, s5, s29
	s_add_u32 s26, s4, 8
	v_cndmask_b32_e64 v5, 0, 1, s[2:3]
	s_waitcnt lgkmcnt(0)
	v_mul_lo_u32 v6, s28, v15
	s_addc_u32 s27, s5, 0
	s_mov_b64 s[28:29], 0
	v_cmp_ne_u32_e64 s[2:3], 1, v5
	s_branch .LBB54_10
.LBB54_8:                               ;   in Loop: Header=BB54_10 Depth=1
	s_or_b64 exec, exec, s[4:5]
	v_ashrrev_i32_e32 v11, 31, v10
	v_cmp_eq_u64_e32 vcc, s[8:9], v[10:11]
	v_subbrev_co_u32_e32 v5, vcc, 0, v10, vcc
	v_mov_b32_e32 v8, 1
	v_lshl_add_u32 v5, v5, 3, 0
	v_mov_b32_e32 v9, 0
	ds_add_u64 v5, v[8:9]
.LBB54_9:                               ;   in Loop: Header=BB54_10 Depth=1
	s_or_b64 exec, exec, s[30:31]
	v_add_co_u32_e32 v2, vcc, v2, v6
	v_addc_co_u32_e32 v3, vcc, 0, v3, vcc
	v_cmp_le_i64_e32 vcc, s[14:15], v[2:3]
	s_or_b64 s[28:29], vcc, s[28:29]
	s_andn2_b64 exec, exec, s[28:29]
	s_cbranch_execz .LBB54_22
.LBB54_10:                              ; =>This Loop Header: Depth=1
                                        ;     Child Loop BB54_11 Depth 2
	s_and_b64 vcc, exec, s[2:3]
	v_pk_mov_b32 v[8:9], 0, 0
	s_mov_b64 s[30:31], s[26:27]
	s_mov_b32 s44, s43
	v_pk_mov_b32 v[10:11], v[2:3], v[2:3] op_sel:[0,1]
	v_pk_mov_b32 v[12:13], v[2:3], v[2:3] op_sel:[0,1]
	s_cbranch_vccnz .LBB54_17
.LBB54_11:                              ;   Parent Loop BB54_10 Depth=1
                                        ; =>  This Inner Loop Header: Depth=2
	s_load_dwordx2 s[34:35], s[30:31], 0x0
                                        ; implicit-def: $vgpr12_vgpr13
	s_waitcnt lgkmcnt(0)
	v_or_b32_e32 v5, s35, v11
	v_cmp_ne_u64_e32 vcc, 0, v[4:5]
	s_and_saveexec_b64 s[4:5], vcc
	s_xor_b64 s[36:37], exec, s[4:5]
	s_cbranch_execz .LBB54_13
; %bb.12:                               ;   in Loop: Header=BB54_11 Depth=2
	s_ashr_i32 s38, s35, 31
	s_add_u32 s4, s34, s38
	s_mov_b32 s39, s38
	s_addc_u32 s5, s35, s38
	s_xor_b64 s[40:41], s[4:5], s[38:39]
	v_cvt_f32_u32_e32 v5, s40
	v_cvt_f32_u32_e32 v12, s41
	s_sub_u32 s4, 0, s40
	s_subb_u32 s5, 0, s41
	v_mac_f32_e32 v5, 0x4f800000, v12
	v_rcp_f32_e32 v5, v5
	v_mul_f32_e32 v5, 0x5f7ffffc, v5
	v_mul_f32_e32 v12, 0x2f800000, v5
	v_trunc_f32_e32 v12, v12
	v_mac_f32_e32 v5, 0xcf800000, v12
	v_cvt_u32_f32_e32 v12, v12
	v_cvt_u32_f32_e32 v5, v5
	v_mul_lo_u32 v13, s4, v12
	v_mul_hi_u32 v17, s4, v5
	v_mul_lo_u32 v16, s5, v5
	v_add_u32_e32 v13, v17, v13
	v_mul_lo_u32 v18, s4, v5
	v_add_u32_e32 v13, v13, v16
	v_mul_lo_u32 v17, v5, v13
	v_mul_hi_u32 v19, v5, v18
	v_mul_hi_u32 v16, v5, v13
	v_add_co_u32_e32 v17, vcc, v19, v17
	v_addc_co_u32_e32 v16, vcc, 0, v16, vcc
	v_mul_hi_u32 v20, v12, v18
	v_mul_lo_u32 v18, v12, v18
	v_add_co_u32_e32 v17, vcc, v17, v18
	v_mul_hi_u32 v19, v12, v13
	v_addc_co_u32_e32 v16, vcc, v16, v20, vcc
	v_addc_co_u32_e32 v17, vcc, 0, v19, vcc
	v_mul_lo_u32 v13, v12, v13
	v_add_co_u32_e32 v13, vcc, v16, v13
	v_addc_co_u32_e32 v16, vcc, 0, v17, vcc
	v_add_co_u32_e32 v5, vcc, v5, v13
	v_addc_co_u32_e32 v12, vcc, v12, v16, vcc
	v_mul_lo_u32 v13, s4, v12
	v_mul_hi_u32 v16, s4, v5
	v_add_u32_e32 v13, v16, v13
	v_mul_lo_u32 v16, s5, v5
	v_add_u32_e32 v13, v13, v16
	v_mul_lo_u32 v17, s4, v5
	v_mul_hi_u32 v18, v12, v17
	v_mul_lo_u32 v19, v12, v17
	v_mul_lo_u32 v21, v5, v13
	v_mul_hi_u32 v17, v5, v17
	v_mul_hi_u32 v20, v5, v13
	v_add_co_u32_e32 v17, vcc, v17, v21
	v_addc_co_u32_e32 v20, vcc, 0, v20, vcc
	v_add_co_u32_e32 v17, vcc, v17, v19
	v_mul_hi_u32 v16, v12, v13
	v_addc_co_u32_e32 v17, vcc, v20, v18, vcc
	v_addc_co_u32_e32 v16, vcc, 0, v16, vcc
	v_mul_lo_u32 v13, v12, v13
	v_add_co_u32_e32 v13, vcc, v17, v13
	v_addc_co_u32_e32 v16, vcc, 0, v16, vcc
	v_add_co_u32_e32 v5, vcc, v5, v13
	v_addc_co_u32_e32 v16, vcc, v12, v16, vcc
	v_ashrrev_i32_e32 v18, 31, v11
	v_add_co_u32_e32 v12, vcc, v10, v18
	v_addc_co_u32_e32 v13, vcc, v11, v18, vcc
	v_xor_b32_e32 v20, v12, v18
	v_xor_b32_e32 v19, v13, v18
	v_mad_u64_u32 v[12:13], s[4:5], v20, v16, 0
	v_mul_hi_u32 v17, v20, v5
	v_add_co_u32_e32 v21, vcc, v17, v12
	v_addc_co_u32_e32 v22, vcc, 0, v13, vcc
	v_mad_u64_u32 v[12:13], s[4:5], v19, v16, 0
	v_mad_u64_u32 v[16:17], s[4:5], v19, v5, 0
	v_add_co_u32_e32 v5, vcc, v21, v16
	v_addc_co_u32_e32 v5, vcc, v22, v17, vcc
	v_addc_co_u32_e32 v13, vcc, 0, v13, vcc
	v_add_co_u32_e32 v5, vcc, v5, v12
	v_addc_co_u32_e32 v16, vcc, 0, v13, vcc
	v_mul_lo_u32 v17, s41, v5
	v_mul_lo_u32 v21, s40, v16
	v_mad_u64_u32 v[12:13], s[4:5], s40, v5, 0
	v_add3_u32 v13, v13, v21, v17
	v_sub_u32_e32 v17, v19, v13
	v_mov_b32_e32 v21, s41
	v_sub_co_u32_e32 v12, vcc, v20, v12
	v_subb_co_u32_e64 v17, s[4:5], v17, v21, vcc
	v_subrev_co_u32_e64 v20, s[4:5], s40, v12
	v_subbrev_co_u32_e64 v17, s[4:5], 0, v17, s[4:5]
	v_cmp_le_u32_e64 s[4:5], s41, v17
	v_cndmask_b32_e64 v21, 0, -1, s[4:5]
	v_cmp_le_u32_e64 s[4:5], s40, v20
	v_cndmask_b32_e64 v20, 0, -1, s[4:5]
	v_cmp_eq_u32_e64 s[4:5], s41, v17
	v_cndmask_b32_e64 v17, v21, v20, s[4:5]
	v_add_co_u32_e64 v20, s[4:5], 2, v5
	v_subb_co_u32_e32 v13, vcc, v19, v13, vcc
	v_addc_co_u32_e64 v21, s[4:5], 0, v16, s[4:5]
	v_cmp_le_u32_e32 vcc, s41, v13
	v_add_co_u32_e64 v22, s[4:5], 1, v5
	v_cndmask_b32_e64 v19, 0, -1, vcc
	v_cmp_le_u32_e32 vcc, s40, v12
	v_addc_co_u32_e64 v23, s[4:5], 0, v16, s[4:5]
	v_cndmask_b32_e64 v12, 0, -1, vcc
	v_cmp_eq_u32_e32 vcc, s41, v13
	v_cmp_ne_u32_e64 s[4:5], 0, v17
	v_cndmask_b32_e32 v12, v19, v12, vcc
	v_cmp_ne_u32_e32 vcc, 0, v12
	v_cndmask_b32_e64 v13, v22, v20, s[4:5]
	v_cndmask_b32_e64 v17, v23, v21, s[4:5]
	v_cndmask_b32_e32 v5, v5, v13, vcc
	v_xor_b32_e32 v13, s38, v18
	v_cndmask_b32_e32 v12, v16, v17, vcc
	v_xor_b32_e32 v5, v5, v13
	v_xor_b32_e32 v16, v12, v13
	v_sub_co_u32_e32 v12, vcc, v5, v13
	v_subb_co_u32_e32 v13, vcc, v16, v13, vcc
.LBB54_13:                              ;   in Loop: Header=BB54_11 Depth=2
	s_andn2_saveexec_b64 s[4:5], s[36:37]
	s_cbranch_execz .LBB54_15
; %bb.14:                               ;   in Loop: Header=BB54_11 Depth=2
	v_cvt_f32_u32_e32 v5, s34
	s_sub_i32 s36, 0, s34
	v_rcp_iflag_f32_e32 v5, v5
	v_mul_f32_e32 v5, 0x4f7ffffe, v5
	v_cvt_u32_f32_e32 v5, v5
	v_mul_lo_u32 v12, s36, v5
	v_mul_hi_u32 v12, v5, v12
	v_add_u32_e32 v5, v5, v12
	v_mul_hi_u32 v5, v10, v5
	v_mul_lo_u32 v12, v5, s34
	v_sub_u32_e32 v12, v10, v12
	v_add_u32_e32 v13, 1, v5
	v_subrev_u32_e32 v16, s34, v12
	v_cmp_le_u32_e32 vcc, s34, v12
	v_cndmask_b32_e32 v12, v12, v16, vcc
	v_cndmask_b32_e32 v5, v5, v13, vcc
	v_add_u32_e32 v13, 1, v5
	v_cmp_le_u32_e32 vcc, s34, v12
	v_cndmask_b32_e32 v12, v5, v13, vcc
	v_mov_b32_e32 v13, v4
.LBB54_15:                              ;   in Loop: Header=BB54_11 Depth=2
	s_or_b64 exec, exec, s[4:5]
	v_mad_u64_u32 v[16:17], s[4:5], v12, s34, 0
	s_load_dwordx2 s[4:5], s[30:31], 0xc8
	v_mul_lo_u32 v5, v13, s34
	v_mul_lo_u32 v18, v12, s35
	v_add3_u32 v5, v17, v18, v5
	v_sub_co_u32_e32 v10, vcc, v10, v16
	s_add_i32 s44, s44, -1
	v_subb_co_u32_e32 v5, vcc, v11, v5, vcc
	s_add_u32 s30, s30, -8
	s_waitcnt lgkmcnt(0)
	v_mul_lo_u32 v5, s4, v5
	v_mul_lo_u32 v11, s5, v10
	v_mad_u64_u32 v[8:9], s[4:5], s4, v10, v[8:9]
	s_addc_u32 s31, s31, -1
	s_cmp_gt_u32 s44, 2
	v_add3_u32 v9, v11, v9, v5
	s_cbranch_scc0 .LBB54_17
; %bb.16:                               ;   in Loop: Header=BB54_11 Depth=2
	v_pk_mov_b32 v[10:11], v[12:13], v[12:13] op_sel:[0,1]
	s_branch .LBB54_11
.LBB54_17:                              ;   in Loop: Header=BB54_10 Depth=1
	v_mul_lo_u32 v5, s23, v12
	v_mul_lo_u32 v13, s22, v13
	v_mad_u64_u32 v[10:11], s[4:5], s22, v12, 0
	v_add3_u32 v11, v11, v13, v5
	v_lshlrev_b64 v[10:11], 1, v[10:11]
	v_mov_b32_e32 v5, s25
	v_add_co_u32_e32 v10, vcc, s24, v10
	v_addc_co_u32_e32 v5, vcc, v5, v11, vcc
	v_lshlrev_b64 v[8:9], 1, v[8:9]
	v_add_co_u32_e32 v8, vcc, v10, v8
	v_addc_co_u32_e32 v9, vcc, v5, v9, vcc
	global_load_ushort v5, v[8:9], off
	s_waitcnt vmcnt(0)
	v_bfe_i32 v8, v5, 0, 16
	v_ashrrev_i32_e32 v9, 31, v8
	v_cmp_le_i64_e32 vcc, s[10:11], v[8:9]
	v_cmp_ge_i64_e64 s[4:5], s[12:13], v[8:9]
	s_and_b64 s[4:5], vcc, s[4:5]
	s_and_saveexec_b64 s[30:31], s[4:5]
	s_cbranch_execz .LBB54_9
; %bb.18:                               ;   in Loop: Header=BB54_10 Depth=1
	v_mov_b32_e32 v5, s11
	v_subrev_co_u32_e32 v8, vcc, s10, v8
	v_subb_co_u32_e32 v5, vcc, v9, v5, vcc
	v_mul_lo_u32 v5, v5, s8
	v_mul_lo_u32 v10, v8, s9
	v_mad_u64_u32 v[8:9], s[4:5], v8, s8, 0
	v_add3_u32 v9, v9, v10, v5
	v_or_b32_e32 v5, s42, v9
	v_cmp_ne_u64_e32 vcc, 0, v[4:5]
                                        ; implicit-def: $vgpr10_vgpr11
	s_and_saveexec_b64 s[4:5], vcc
	s_xor_b64 s[34:35], exec, s[4:5]
	s_cbranch_execz .LBB54_20
; %bb.19:                               ;   in Loop: Header=BB54_10 Depth=1
	s_ashr_i32 s36, s42, 31
	s_add_u32 s4, s33, s36
	s_mov_b32 s37, s36
	s_addc_u32 s5, s42, s36
	s_xor_b64 s[38:39], s[4:5], s[36:37]
	v_cvt_f32_u32_e32 v5, s38
	v_cvt_f32_u32_e32 v10, s39
	s_sub_u32 s4, 0, s38
	s_subb_u32 s5, 0, s39
	v_mac_f32_e32 v5, 0x4f800000, v10
	v_rcp_f32_e32 v5, v5
	v_mul_f32_e32 v5, 0x5f7ffffc, v5
	v_mul_f32_e32 v10, 0x2f800000, v5
	v_trunc_f32_e32 v10, v10
	v_mac_f32_e32 v5, 0xcf800000, v10
	v_cvt_u32_f32_e32 v10, v10
	v_cvt_u32_f32_e32 v5, v5
	v_mul_lo_u32 v11, s4, v10
	v_mul_hi_u32 v13, s4, v5
	v_mul_lo_u32 v12, s5, v5
	v_add_u32_e32 v11, v13, v11
	v_mul_lo_u32 v16, s4, v5
	v_add_u32_e32 v11, v11, v12
	v_mul_lo_u32 v13, v5, v11
	v_mul_hi_u32 v17, v5, v16
	v_mul_hi_u32 v12, v5, v11
	v_add_co_u32_e32 v13, vcc, v17, v13
	v_addc_co_u32_e32 v12, vcc, 0, v12, vcc
	v_mul_hi_u32 v18, v10, v16
	v_mul_lo_u32 v16, v10, v16
	v_add_co_u32_e32 v13, vcc, v13, v16
	v_mul_hi_u32 v17, v10, v11
	v_addc_co_u32_e32 v12, vcc, v12, v18, vcc
	v_addc_co_u32_e32 v13, vcc, 0, v17, vcc
	v_mul_lo_u32 v11, v10, v11
	v_add_co_u32_e32 v11, vcc, v12, v11
	v_addc_co_u32_e32 v12, vcc, 0, v13, vcc
	v_add_co_u32_e32 v5, vcc, v5, v11
	v_addc_co_u32_e32 v10, vcc, v10, v12, vcc
	v_mul_lo_u32 v11, s4, v10
	v_mul_hi_u32 v12, s4, v5
	v_add_u32_e32 v11, v12, v11
	v_mul_lo_u32 v12, s5, v5
	v_add_u32_e32 v11, v11, v12
	v_mul_lo_u32 v13, s4, v5
	v_mul_hi_u32 v16, v10, v13
	v_mul_lo_u32 v17, v10, v13
	v_mul_lo_u32 v19, v5, v11
	v_mul_hi_u32 v13, v5, v13
	v_mul_hi_u32 v18, v5, v11
	v_add_co_u32_e32 v13, vcc, v13, v19
	v_addc_co_u32_e32 v18, vcc, 0, v18, vcc
	v_add_co_u32_e32 v13, vcc, v13, v17
	v_mul_hi_u32 v12, v10, v11
	v_addc_co_u32_e32 v13, vcc, v18, v16, vcc
	v_addc_co_u32_e32 v12, vcc, 0, v12, vcc
	v_mul_lo_u32 v11, v10, v11
	v_add_co_u32_e32 v11, vcc, v13, v11
	v_addc_co_u32_e32 v12, vcc, 0, v12, vcc
	v_add_co_u32_e32 v5, vcc, v5, v11
	v_addc_co_u32_e32 v10, vcc, v10, v12, vcc
	v_ashrrev_i32_e32 v12, 31, v9
	v_add_co_u32_e32 v8, vcc, v8, v12
	v_addc_co_u32_e32 v9, vcc, v9, v12, vcc
	v_xor_b32_e32 v16, v8, v12
	v_xor_b32_e32 v13, v9, v12
	v_mad_u64_u32 v[8:9], s[4:5], v16, v10, 0
	v_mul_hi_u32 v11, v16, v5
	v_add_co_u32_e32 v17, vcc, v11, v8
	v_addc_co_u32_e32 v18, vcc, 0, v9, vcc
	v_mad_u64_u32 v[8:9], s[4:5], v13, v10, 0
	v_mad_u64_u32 v[10:11], s[4:5], v13, v5, 0
	v_add_co_u32_e32 v5, vcc, v17, v10
	v_addc_co_u32_e32 v5, vcc, v18, v11, vcc
	v_addc_co_u32_e32 v9, vcc, 0, v9, vcc
	v_add_co_u32_e32 v5, vcc, v5, v8
	v_addc_co_u32_e32 v8, vcc, 0, v9, vcc
	v_mul_lo_u32 v10, s39, v5
	v_mul_lo_u32 v11, s38, v8
	v_mad_u64_u32 v[8:9], s[4:5], s38, v5, 0
	v_add3_u32 v9, v9, v11, v10
	v_sub_u32_e32 v10, v13, v9
	v_mov_b32_e32 v11, s39
	v_sub_co_u32_e32 v8, vcc, v16, v8
	v_subb_co_u32_e64 v10, s[4:5], v10, v11, vcc
	v_subrev_co_u32_e64 v11, s[4:5], s38, v8
	v_subbrev_co_u32_e64 v10, s[4:5], 0, v10, s[4:5]
	v_cmp_le_u32_e64 s[4:5], s39, v10
	v_subb_co_u32_e32 v9, vcc, v13, v9, vcc
	v_cndmask_b32_e64 v16, 0, -1, s[4:5]
	v_cmp_le_u32_e64 s[4:5], s38, v11
	v_cmp_le_u32_e32 vcc, s39, v9
	v_cndmask_b32_e64 v11, 0, -1, s[4:5]
	v_cmp_eq_u32_e64 s[4:5], s39, v10
	v_cndmask_b32_e64 v13, 0, -1, vcc
	v_cmp_le_u32_e32 vcc, s38, v8
	v_cndmask_b32_e64 v10, v16, v11, s[4:5]
	v_cndmask_b32_e64 v8, 0, -1, vcc
	v_cmp_eq_u32_e32 vcc, s39, v9
	v_add_co_u32_e64 v11, s[4:5], 2, v5
	v_add_co_u32_e64 v16, s[4:5], 1, v5
	v_cndmask_b32_e32 v8, v13, v8, vcc
	v_cmp_ne_u32_e32 vcc, 0, v10
	v_cndmask_b32_e32 v9, v16, v11, vcc
	v_cmp_ne_u32_e32 vcc, 0, v8
	v_cndmask_b32_e32 v5, v5, v9, vcc
	v_xor_b32_e32 v8, s36, v12
	v_xor_b32_e32 v5, v5, v8
	v_sub_co_u32_e32 v10, vcc, v5, v8
                                        ; implicit-def: $vgpr8_vgpr9
.LBB54_20:                              ;   in Loop: Header=BB54_10 Depth=1
	s_andn2_saveexec_b64 s[4:5], s[34:35]
	s_cbranch_execz .LBB54_8
; %bb.21:                               ;   in Loop: Header=BB54_10 Depth=1
	v_cvt_f32_u32_e32 v5, s33
	s_sub_i32 s34, 0, s33
	v_rcp_iflag_f32_e32 v5, v5
	v_mul_f32_e32 v5, 0x4f7ffffe, v5
	v_cvt_u32_f32_e32 v5, v5
	v_mul_lo_u32 v9, s34, v5
	v_mul_hi_u32 v9, v5, v9
	v_add_u32_e32 v5, v5, v9
	v_mul_hi_u32 v5, v8, v5
	v_mul_lo_u32 v9, v5, s33
	v_sub_u32_e32 v8, v8, v9
	v_add_u32_e32 v10, 1, v5
	v_subrev_u32_e32 v9, s33, v8
	v_cmp_le_u32_e32 vcc, s33, v8
	v_cndmask_b32_e32 v8, v8, v9, vcc
	v_cndmask_b32_e32 v5, v5, v10, vcc
	v_add_u32_e32 v9, 1, v5
	v_cmp_le_u32_e32 vcc, s33, v8
	v_cndmask_b32_e32 v10, v5, v9, vcc
	s_branch .LBB54_8
.LBB54_22:
	s_or_b64 exec, exec, s[6:7]
; %bb.23:
	s_waitcnt lgkmcnt(0)
	s_barrier
	s_and_saveexec_b64 s[2:3], s[0:1]
	s_cbranch_execz .LBB54_26
; %bb.24:
	v_mad_u64_u32 v[4:5], s[0:1], s20, v0, 0
	v_mov_b32_e32 v6, v5
	v_and_b32_e32 v2, 0xffff, v7
	v_mad_u64_u32 v[6:7], s[0:1], s21, v0, v[6:7]
	v_mov_b32_e32 v5, v6
	v_mad_u64_u32 v[6:7], s[0:1], s20, v2, 0
	v_mov_b32_e32 v8, v7
	v_lshlrev_b64 v[4:5], 3, v[4:5]
	v_mad_u64_u32 v[8:9], s[0:1], s21, v2, v[8:9]
	v_mov_b32_e32 v3, s17
	v_add_co_u32_e32 v4, vcc, s16, v4
	v_mov_b32_e32 v7, v8
	v_addc_co_u32_e32 v5, vcc, v3, v5, vcc
	v_lshlrev_b64 v[6:7], 3, v[6:7]
	v_lshlrev_b32_e32 v3, 3, v15
	s_mov_b64 s[0:1], 0
.LBB54_25:                              ; =>This Inner Loop Header: Depth=1
	ds_read_b64 v[8:9], v14
	v_add_co_u32_e32 v0, vcc, v0, v2
	v_addc_co_u32_e32 v1, vcc, 0, v1, vcc
	s_waitcnt lgkmcnt(0)
	global_atomic_add_x2 v[4:5], v[8:9], off
	v_cmp_le_i64_e32 vcc, s[18:19], v[0:1]
	s_or_b64 s[0:1], vcc, s[0:1]
	v_add_co_u32_e32 v4, vcc, v4, v6
	v_add_u32_e32 v14, v14, v3
	v_addc_co_u32_e32 v5, vcc, v5, v7, vcc
	s_andn2_b64 exec, exec, s[0:1]
	s_cbranch_execnz .LBB54_25
.LBB54_26:
	s_endpgm
	.section	.rodata,"a",@progbits
	.p2align	6, 0x0
	.amdhsa_kernel _ZN2at4cuda17kernelHistogram1DIlslLi1ELi2ELin1ELNS0_23CUDAHistogramMemoryTypeE0EZNS0_21CUDA_tensor_histogramIlsLb0EEEbNS_6TensorES4_S4_lNS_14AccumulateTypeIT0_Lb1EE4typeES8_NS0_13TensorArgTypeES9_S9_EUllE0_EEvNS0_6detail10TensorInfoIT_T1_EESF_NSC_IKS6_SE_EElS8_S8_SE_T6_
		.amdhsa_group_segment_fixed_size 0
		.amdhsa_private_segment_fixed_size 0
		.amdhsa_kernarg_size 1544
		.amdhsa_user_sgpr_count 6
		.amdhsa_user_sgpr_private_segment_buffer 1
		.amdhsa_user_sgpr_dispatch_ptr 0
		.amdhsa_user_sgpr_queue_ptr 0
		.amdhsa_user_sgpr_kernarg_segment_ptr 1
		.amdhsa_user_sgpr_dispatch_id 0
		.amdhsa_user_sgpr_flat_scratch_init 0
		.amdhsa_user_sgpr_kernarg_preload_length 0
		.amdhsa_user_sgpr_kernarg_preload_offset 0
		.amdhsa_user_sgpr_private_segment_size 0
		.amdhsa_uses_dynamic_stack 0
		.amdhsa_system_sgpr_private_segment_wavefront_offset 0
		.amdhsa_system_sgpr_workgroup_id_x 1
		.amdhsa_system_sgpr_workgroup_id_y 0
		.amdhsa_system_sgpr_workgroup_id_z 0
		.amdhsa_system_sgpr_workgroup_info 0
		.amdhsa_system_vgpr_workitem_id 0
		.amdhsa_next_free_vgpr 24
		.amdhsa_next_free_sgpr 45
		.amdhsa_accum_offset 24
		.amdhsa_reserve_vcc 1
		.amdhsa_reserve_flat_scratch 0
		.amdhsa_float_round_mode_32 0
		.amdhsa_float_round_mode_16_64 0
		.amdhsa_float_denorm_mode_32 3
		.amdhsa_float_denorm_mode_16_64 3
		.amdhsa_dx10_clamp 1
		.amdhsa_ieee_mode 1
		.amdhsa_fp16_overflow 0
		.amdhsa_tg_split 0
		.amdhsa_exception_fp_ieee_invalid_op 0
		.amdhsa_exception_fp_denorm_src 0
		.amdhsa_exception_fp_ieee_div_zero 0
		.amdhsa_exception_fp_ieee_overflow 0
		.amdhsa_exception_fp_ieee_underflow 0
		.amdhsa_exception_fp_ieee_inexact 0
		.amdhsa_exception_int_div_zero 0
	.end_amdhsa_kernel
	.section	.text._ZN2at4cuda17kernelHistogram1DIlslLi1ELi2ELin1ELNS0_23CUDAHistogramMemoryTypeE0EZNS0_21CUDA_tensor_histogramIlsLb0EEEbNS_6TensorES4_S4_lNS_14AccumulateTypeIT0_Lb1EE4typeES8_NS0_13TensorArgTypeES9_S9_EUllE0_EEvNS0_6detail10TensorInfoIT_T1_EESF_NSC_IKS6_SE_EElS8_S8_SE_T6_,"axG",@progbits,_ZN2at4cuda17kernelHistogram1DIlslLi1ELi2ELin1ELNS0_23CUDAHistogramMemoryTypeE0EZNS0_21CUDA_tensor_histogramIlsLb0EEEbNS_6TensorES4_S4_lNS_14AccumulateTypeIT0_Lb1EE4typeES8_NS0_13TensorArgTypeES9_S9_EUllE0_EEvNS0_6detail10TensorInfoIT_T1_EESF_NSC_IKS6_SE_EElS8_S8_SE_T6_,comdat
.Lfunc_end54:
	.size	_ZN2at4cuda17kernelHistogram1DIlslLi1ELi2ELin1ELNS0_23CUDAHistogramMemoryTypeE0EZNS0_21CUDA_tensor_histogramIlsLb0EEEbNS_6TensorES4_S4_lNS_14AccumulateTypeIT0_Lb1EE4typeES8_NS0_13TensorArgTypeES9_S9_EUllE0_EEvNS0_6detail10TensorInfoIT_T1_EESF_NSC_IKS6_SE_EElS8_S8_SE_T6_, .Lfunc_end54-_ZN2at4cuda17kernelHistogram1DIlslLi1ELi2ELin1ELNS0_23CUDAHistogramMemoryTypeE0EZNS0_21CUDA_tensor_histogramIlsLb0EEEbNS_6TensorES4_S4_lNS_14AccumulateTypeIT0_Lb1EE4typeES8_NS0_13TensorArgTypeES9_S9_EUllE0_EEvNS0_6detail10TensorInfoIT_T1_EESF_NSC_IKS6_SE_EElS8_S8_SE_T6_
                                        ; -- End function
	.section	.AMDGPU.csdata,"",@progbits
; Kernel info:
; codeLenInByte = 2516
; NumSgprs: 49
; NumVgprs: 24
; NumAgprs: 0
; TotalNumVgprs: 24
; ScratchSize: 0
; MemoryBound: 0
; FloatMode: 240
; IeeeMode: 1
; LDSByteSize: 0 bytes/workgroup (compile time only)
; SGPRBlocks: 6
; VGPRBlocks: 2
; NumSGPRsForWavesPerEU: 49
; NumVGPRsForWavesPerEU: 24
; AccumOffset: 24
; Occupancy: 8
; WaveLimiterHint : 1
; COMPUTE_PGM_RSRC2:SCRATCH_EN: 0
; COMPUTE_PGM_RSRC2:USER_SGPR: 6
; COMPUTE_PGM_RSRC2:TRAP_HANDLER: 0
; COMPUTE_PGM_RSRC2:TGID_X_EN: 1
; COMPUTE_PGM_RSRC2:TGID_Y_EN: 0
; COMPUTE_PGM_RSRC2:TGID_Z_EN: 0
; COMPUTE_PGM_RSRC2:TIDIG_COMP_CNT: 0
; COMPUTE_PGM_RSRC3_GFX90A:ACCUM_OFFSET: 5
; COMPUTE_PGM_RSRC3_GFX90A:TG_SPLIT: 0
	.section	.text._ZN2at4cuda17kernelHistogram1DIlslLi1ELi2ELin1ELNS0_23CUDAHistogramMemoryTypeE1EZNS0_21CUDA_tensor_histogramIlsLb0EEEbNS_6TensorES4_S4_lNS_14AccumulateTypeIT0_Lb1EE4typeES8_NS0_13TensorArgTypeES9_S9_EUllE0_EEvNS0_6detail10TensorInfoIT_T1_EESF_NSC_IKS6_SE_EElS8_S8_SE_T6_,"axG",@progbits,_ZN2at4cuda17kernelHistogram1DIlslLi1ELi2ELin1ELNS0_23CUDAHistogramMemoryTypeE1EZNS0_21CUDA_tensor_histogramIlsLb0EEEbNS_6TensorES4_S4_lNS_14AccumulateTypeIT0_Lb1EE4typeES8_NS0_13TensorArgTypeES9_S9_EUllE0_EEvNS0_6detail10TensorInfoIT_T1_EESF_NSC_IKS6_SE_EElS8_S8_SE_T6_,comdat
	.protected	_ZN2at4cuda17kernelHistogram1DIlslLi1ELi2ELin1ELNS0_23CUDAHistogramMemoryTypeE1EZNS0_21CUDA_tensor_histogramIlsLb0EEEbNS_6TensorES4_S4_lNS_14AccumulateTypeIT0_Lb1EE4typeES8_NS0_13TensorArgTypeES9_S9_EUllE0_EEvNS0_6detail10TensorInfoIT_T1_EESF_NSC_IKS6_SE_EElS8_S8_SE_T6_ ; -- Begin function _ZN2at4cuda17kernelHistogram1DIlslLi1ELi2ELin1ELNS0_23CUDAHistogramMemoryTypeE1EZNS0_21CUDA_tensor_histogramIlsLb0EEEbNS_6TensorES4_S4_lNS_14AccumulateTypeIT0_Lb1EE4typeES8_NS0_13TensorArgTypeES9_S9_EUllE0_EEvNS0_6detail10TensorInfoIT_T1_EESF_NSC_IKS6_SE_EElS8_S8_SE_T6_
	.globl	_ZN2at4cuda17kernelHistogram1DIlslLi1ELi2ELin1ELNS0_23CUDAHistogramMemoryTypeE1EZNS0_21CUDA_tensor_histogramIlsLb0EEEbNS_6TensorES4_S4_lNS_14AccumulateTypeIT0_Lb1EE4typeES8_NS0_13TensorArgTypeES9_S9_EUllE0_EEvNS0_6detail10TensorInfoIT_T1_EESF_NSC_IKS6_SE_EElS8_S8_SE_T6_
	.p2align	8
	.type	_ZN2at4cuda17kernelHistogram1DIlslLi1ELi2ELin1ELNS0_23CUDAHistogramMemoryTypeE1EZNS0_21CUDA_tensor_histogramIlsLb0EEEbNS_6TensorES4_S4_lNS_14AccumulateTypeIT0_Lb1EE4typeES8_NS0_13TensorArgTypeES9_S9_EUllE0_EEvNS0_6detail10TensorInfoIT_T1_EESF_NSC_IKS6_SE_EElS8_S8_SE_T6_,@function
_ZN2at4cuda17kernelHistogram1DIlslLi1ELi2ELin1ELNS0_23CUDAHistogramMemoryTypeE1EZNS0_21CUDA_tensor_histogramIlsLb0EEEbNS_6TensorES4_S4_lNS_14AccumulateTypeIT0_Lb1EE4typeES8_NS0_13TensorArgTypeES9_S9_EUllE0_EEvNS0_6detail10TensorInfoIT_T1_EESF_NSC_IKS6_SE_EElS8_S8_SE_T6_: ; @_ZN2at4cuda17kernelHistogram1DIlslLi1ELi2ELin1ELNS0_23CUDAHistogramMemoryTypeE1EZNS0_21CUDA_tensor_histogramIlsLb0EEEbNS_6TensorES4_S4_lNS_14AccumulateTypeIT0_Lb1EE4typeES8_NS0_13TensorArgTypeES9_S9_EUllE0_EEvNS0_6detail10TensorInfoIT_T1_EESF_NSC_IKS6_SE_EElS8_S8_SE_T6_
; %bb.0:
	s_load_dword s2, s[4:5], 0x514
	s_load_dwordx8 s[8:15], s[4:5], 0x4e0
	s_add_u32 s0, s4, 0x508
	s_addc_u32 s1, s5, 0
	v_mov_b32_e32 v2, 0
	s_waitcnt lgkmcnt(0)
	s_and_b32 s2, s2, 0xffff
	s_mul_i32 s6, s6, s2
	v_add_u32_e32 v0, s6, v0
	v_mov_b32_e32 v1, v2
	v_cmp_gt_i64_e32 vcc, s[14:15], v[0:1]
	s_and_saveexec_b64 s[6:7], vcc
	s_cbranch_execz .LBB55_16
; %bb.1:
	s_load_dword s3, s[4:5], 0x4d8
	s_load_dwordx2 s[6:7], s[4:5], 0x0
	s_load_dwordx2 s[16:17], s[4:5], 0xd0
	s_load_dword s24, s[0:1], 0x0
	s_add_u32 s22, s4, 0x340
	s_addc_u32 s23, s5, 0
	s_mov_b32 s38, 0
	s_waitcnt lgkmcnt(0)
	s_cmp_gt_i32 s3, 1
	s_cselect_b64 s[0:1], -1, 0
	s_sub_u32 s33, s12, s10
	s_subb_u32 s36, s13, s11
	s_mul_i32 s37, s24, s2
	s_add_i32 s39, s3, 1
	s_add_i32 s2, s3, -1
	s_mov_b32 s3, s38
	s_load_dwordx2 s[18:19], s[4:5], 0x410
	s_load_dwordx2 s[20:21], s[4:5], 0x340
	s_lshl_b64 s[2:3], s[2:3], 3
	s_add_u32 s2, s2, s22
	s_addc_u32 s3, s3, s23
	s_add_u32 s4, s2, 8
	v_cndmask_b32_e64 v3, 0, 1, s[0:1]
	s_addc_u32 s5, s3, 0
	s_mov_b64 s[22:23], 0
	v_cmp_ne_u32_e64 s[0:1], 1, v3
	s_branch .LBB55_4
.LBB55_2:                               ;   in Loop: Header=BB55_4 Depth=1
	s_or_b64 exec, exec, s[2:3]
	v_ashrrev_i32_e32 v7, 31, v6
	v_cmp_eq_u64_e32 vcc, s[8:9], v[6:7]
	v_cndmask_b32_e64 v3, 0, 1, vcc
	v_sub_co_u32_e32 v3, vcc, v6, v3
	v_subbrev_co_u32_e32 v4, vcc, 0, v7, vcc
	v_mul_lo_u32 v6, v4, s16
	v_mul_lo_u32 v7, v3, s17
	v_mad_u64_u32 v[4:5], s[2:3], v3, s16, 0
	v_add3_u32 v5, v5, v7, v6
	v_lshlrev_b64 v[4:5], 3, v[4:5]
	v_mov_b32_e32 v3, s7
	v_add_co_u32_e32 v4, vcc, s6, v4
	v_mov_b32_e32 v6, 1
	v_addc_co_u32_e32 v5, vcc, v3, v5, vcc
	v_mov_b32_e32 v7, 0
	global_atomic_add_x2 v[4:5], v[6:7], off
.LBB55_3:                               ;   in Loop: Header=BB55_4 Depth=1
	s_or_b64 exec, exec, s[24:25]
	v_mov_b32_e32 v3, s38
	v_add_co_u32_e32 v0, vcc, s37, v0
	v_addc_co_u32_e32 v1, vcc, v1, v3, vcc
	v_cmp_le_i64_e32 vcc, s[14:15], v[0:1]
	s_or_b64 s[22:23], vcc, s[22:23]
	s_andn2_b64 exec, exec, s[22:23]
	s_cbranch_execz .LBB55_16
.LBB55_4:                               ; =>This Loop Header: Depth=1
                                        ;     Child Loop BB55_5 Depth 2
	s_and_b64 vcc, exec, s[0:1]
	v_pk_mov_b32 v[4:5], 0, 0
	s_mov_b64 s[24:25], s[4:5]
	s_mov_b32 s40, s39
	v_pk_mov_b32 v[6:7], v[0:1], v[0:1] op_sel:[0,1]
	v_pk_mov_b32 v[8:9], v[0:1], v[0:1] op_sel:[0,1]
	s_cbranch_vccnz .LBB55_11
.LBB55_5:                               ;   Parent Loop BB55_4 Depth=1
                                        ; =>  This Inner Loop Header: Depth=2
	s_load_dwordx2 s[26:27], s[24:25], 0x0
                                        ; implicit-def: $vgpr8_vgpr9
	s_waitcnt lgkmcnt(0)
	v_or_b32_e32 v3, s27, v7
	v_cmp_ne_u64_e32 vcc, 0, v[2:3]
	s_and_saveexec_b64 s[2:3], vcc
	s_xor_b64 s[28:29], exec, s[2:3]
	s_cbranch_execz .LBB55_7
; %bb.6:                                ;   in Loop: Header=BB55_5 Depth=2
	s_ashr_i32 s30, s27, 31
	s_add_u32 s2, s26, s30
	s_mov_b32 s31, s30
	s_addc_u32 s3, s27, s30
	s_xor_b64 s[34:35], s[2:3], s[30:31]
	v_cvt_f32_u32_e32 v3, s34
	v_cvt_f32_u32_e32 v8, s35
	s_sub_u32 s2, 0, s34
	s_subb_u32 s3, 0, s35
	v_mac_f32_e32 v3, 0x4f800000, v8
	v_rcp_f32_e32 v3, v3
	v_mul_f32_e32 v3, 0x5f7ffffc, v3
	v_mul_f32_e32 v8, 0x2f800000, v3
	v_trunc_f32_e32 v8, v8
	v_mac_f32_e32 v3, 0xcf800000, v8
	v_cvt_u32_f32_e32 v8, v8
	v_cvt_u32_f32_e32 v3, v3
	v_mul_lo_u32 v9, s2, v8
	v_mul_hi_u32 v11, s2, v3
	v_mul_lo_u32 v10, s3, v3
	v_add_u32_e32 v9, v11, v9
	v_mul_lo_u32 v12, s2, v3
	v_add_u32_e32 v9, v9, v10
	v_mul_lo_u32 v11, v3, v9
	v_mul_hi_u32 v13, v3, v12
	v_mul_hi_u32 v10, v3, v9
	v_add_co_u32_e32 v11, vcc, v13, v11
	v_addc_co_u32_e32 v10, vcc, 0, v10, vcc
	v_mul_hi_u32 v14, v8, v12
	v_mul_lo_u32 v12, v8, v12
	v_add_co_u32_e32 v11, vcc, v11, v12
	v_mul_hi_u32 v13, v8, v9
	v_addc_co_u32_e32 v10, vcc, v10, v14, vcc
	v_addc_co_u32_e32 v11, vcc, 0, v13, vcc
	v_mul_lo_u32 v9, v8, v9
	v_add_co_u32_e32 v9, vcc, v10, v9
	v_addc_co_u32_e32 v10, vcc, 0, v11, vcc
	v_add_co_u32_e32 v3, vcc, v3, v9
	v_addc_co_u32_e32 v8, vcc, v8, v10, vcc
	v_mul_lo_u32 v9, s2, v8
	v_mul_hi_u32 v10, s2, v3
	v_add_u32_e32 v9, v10, v9
	v_mul_lo_u32 v10, s3, v3
	v_add_u32_e32 v9, v9, v10
	v_mul_lo_u32 v11, s2, v3
	v_mul_hi_u32 v12, v8, v11
	v_mul_lo_u32 v13, v8, v11
	v_mul_lo_u32 v15, v3, v9
	v_mul_hi_u32 v11, v3, v11
	v_mul_hi_u32 v14, v3, v9
	v_add_co_u32_e32 v11, vcc, v11, v15
	v_addc_co_u32_e32 v14, vcc, 0, v14, vcc
	v_add_co_u32_e32 v11, vcc, v11, v13
	v_mul_hi_u32 v10, v8, v9
	v_addc_co_u32_e32 v11, vcc, v14, v12, vcc
	v_addc_co_u32_e32 v10, vcc, 0, v10, vcc
	v_mul_lo_u32 v9, v8, v9
	v_add_co_u32_e32 v9, vcc, v11, v9
	v_addc_co_u32_e32 v10, vcc, 0, v10, vcc
	v_add_co_u32_e32 v3, vcc, v3, v9
	v_addc_co_u32_e32 v10, vcc, v8, v10, vcc
	v_ashrrev_i32_e32 v12, 31, v7
	v_add_co_u32_e32 v8, vcc, v6, v12
	v_addc_co_u32_e32 v9, vcc, v7, v12, vcc
	v_xor_b32_e32 v14, v8, v12
	v_xor_b32_e32 v13, v9, v12
	v_mad_u64_u32 v[8:9], s[2:3], v14, v10, 0
	v_mul_hi_u32 v11, v14, v3
	v_add_co_u32_e32 v15, vcc, v11, v8
	v_addc_co_u32_e32 v16, vcc, 0, v9, vcc
	v_mad_u64_u32 v[8:9], s[2:3], v13, v10, 0
	v_mad_u64_u32 v[10:11], s[2:3], v13, v3, 0
	v_add_co_u32_e32 v3, vcc, v15, v10
	v_addc_co_u32_e32 v3, vcc, v16, v11, vcc
	v_addc_co_u32_e32 v9, vcc, 0, v9, vcc
	v_add_co_u32_e32 v3, vcc, v3, v8
	v_addc_co_u32_e32 v10, vcc, 0, v9, vcc
	v_mul_lo_u32 v11, s35, v3
	v_mul_lo_u32 v15, s34, v10
	v_mad_u64_u32 v[8:9], s[2:3], s34, v3, 0
	v_add3_u32 v9, v9, v15, v11
	v_sub_u32_e32 v11, v13, v9
	v_mov_b32_e32 v15, s35
	v_sub_co_u32_e32 v8, vcc, v14, v8
	v_subb_co_u32_e64 v11, s[2:3], v11, v15, vcc
	v_subrev_co_u32_e64 v14, s[2:3], s34, v8
	v_subbrev_co_u32_e64 v11, s[2:3], 0, v11, s[2:3]
	v_cmp_le_u32_e64 s[2:3], s35, v11
	v_cndmask_b32_e64 v15, 0, -1, s[2:3]
	v_cmp_le_u32_e64 s[2:3], s34, v14
	v_cndmask_b32_e64 v14, 0, -1, s[2:3]
	v_cmp_eq_u32_e64 s[2:3], s35, v11
	v_cndmask_b32_e64 v11, v15, v14, s[2:3]
	v_add_co_u32_e64 v14, s[2:3], 2, v3
	v_subb_co_u32_e32 v9, vcc, v13, v9, vcc
	v_addc_co_u32_e64 v15, s[2:3], 0, v10, s[2:3]
	v_cmp_le_u32_e32 vcc, s35, v9
	v_add_co_u32_e64 v16, s[2:3], 1, v3
	v_cndmask_b32_e64 v13, 0, -1, vcc
	v_cmp_le_u32_e32 vcc, s34, v8
	v_addc_co_u32_e64 v17, s[2:3], 0, v10, s[2:3]
	v_cndmask_b32_e64 v8, 0, -1, vcc
	v_cmp_eq_u32_e32 vcc, s35, v9
	v_cmp_ne_u32_e64 s[2:3], 0, v11
	v_cndmask_b32_e32 v8, v13, v8, vcc
	v_cmp_ne_u32_e32 vcc, 0, v8
	v_cndmask_b32_e64 v9, v16, v14, s[2:3]
	v_cndmask_b32_e64 v11, v17, v15, s[2:3]
	v_cndmask_b32_e32 v3, v3, v9, vcc
	v_xor_b32_e32 v9, s30, v12
	v_cndmask_b32_e32 v8, v10, v11, vcc
	v_xor_b32_e32 v3, v3, v9
	v_xor_b32_e32 v10, v8, v9
	v_sub_co_u32_e32 v8, vcc, v3, v9
	v_subb_co_u32_e32 v9, vcc, v10, v9, vcc
.LBB55_7:                               ;   in Loop: Header=BB55_5 Depth=2
	s_andn2_saveexec_b64 s[2:3], s[28:29]
	s_cbranch_execz .LBB55_9
; %bb.8:                                ;   in Loop: Header=BB55_5 Depth=2
	v_cvt_f32_u32_e32 v3, s26
	s_sub_i32 s28, 0, s26
	v_rcp_iflag_f32_e32 v3, v3
	v_mul_f32_e32 v3, 0x4f7ffffe, v3
	v_cvt_u32_f32_e32 v3, v3
	v_mul_lo_u32 v8, s28, v3
	v_mul_hi_u32 v8, v3, v8
	v_add_u32_e32 v3, v3, v8
	v_mul_hi_u32 v3, v6, v3
	v_mul_lo_u32 v8, v3, s26
	v_sub_u32_e32 v8, v6, v8
	v_add_u32_e32 v9, 1, v3
	v_subrev_u32_e32 v10, s26, v8
	v_cmp_le_u32_e32 vcc, s26, v8
	v_cndmask_b32_e32 v8, v8, v10, vcc
	v_cndmask_b32_e32 v3, v3, v9, vcc
	v_add_u32_e32 v9, 1, v3
	v_cmp_le_u32_e32 vcc, s26, v8
	v_cndmask_b32_e32 v8, v3, v9, vcc
	v_mov_b32_e32 v9, v2
.LBB55_9:                               ;   in Loop: Header=BB55_5 Depth=2
	s_or_b64 exec, exec, s[2:3]
	v_mad_u64_u32 v[10:11], s[2:3], v8, s26, 0
	s_load_dwordx2 s[2:3], s[24:25], 0xc8
	v_mul_lo_u32 v3, v9, s26
	v_mul_lo_u32 v12, v8, s27
	v_add3_u32 v3, v11, v12, v3
	v_sub_co_u32_e32 v6, vcc, v6, v10
	s_add_i32 s40, s40, -1
	v_subb_co_u32_e32 v3, vcc, v7, v3, vcc
	s_add_u32 s24, s24, -8
	s_waitcnt lgkmcnt(0)
	v_mul_lo_u32 v3, s2, v3
	v_mul_lo_u32 v7, s3, v6
	v_mad_u64_u32 v[4:5], s[2:3], s2, v6, v[4:5]
	s_addc_u32 s25, s25, -1
	s_cmp_gt_u32 s40, 2
	v_add3_u32 v5, v7, v5, v3
	s_cbranch_scc0 .LBB55_11
; %bb.10:                               ;   in Loop: Header=BB55_5 Depth=2
	v_pk_mov_b32 v[6:7], v[8:9], v[8:9] op_sel:[0,1]
	s_branch .LBB55_5
.LBB55_11:                              ;   in Loop: Header=BB55_4 Depth=1
	s_waitcnt lgkmcnt(0)
	v_mul_lo_u32 v3, s19, v8
	v_mul_lo_u32 v9, s18, v9
	v_mad_u64_u32 v[6:7], s[2:3], s18, v8, 0
	v_add3_u32 v7, v7, v9, v3
	v_lshlrev_b64 v[6:7], 1, v[6:7]
	v_mov_b32_e32 v3, s21
	v_add_co_u32_e32 v6, vcc, s20, v6
	v_addc_co_u32_e32 v3, vcc, v3, v7, vcc
	v_lshlrev_b64 v[4:5], 1, v[4:5]
	v_add_co_u32_e32 v4, vcc, v6, v4
	v_addc_co_u32_e32 v5, vcc, v3, v5, vcc
	global_load_ushort v3, v[4:5], off
	s_waitcnt vmcnt(0)
	v_bfe_i32 v4, v3, 0, 16
	v_ashrrev_i32_e32 v5, 31, v4
	v_cmp_le_i64_e32 vcc, s[10:11], v[4:5]
	v_cmp_ge_i64_e64 s[2:3], s[12:13], v[4:5]
	s_and_b64 s[2:3], vcc, s[2:3]
	s_and_saveexec_b64 s[24:25], s[2:3]
	s_cbranch_execz .LBB55_3
; %bb.12:                               ;   in Loop: Header=BB55_4 Depth=1
	v_mov_b32_e32 v3, s11
	v_subrev_co_u32_e32 v4, vcc, s10, v4
	v_subb_co_u32_e32 v3, vcc, v5, v3, vcc
	v_mul_lo_u32 v3, v3, s8
	v_mul_lo_u32 v6, v4, s9
	v_mad_u64_u32 v[4:5], s[2:3], v4, s8, 0
	v_add3_u32 v5, v5, v6, v3
	v_or_b32_e32 v3, s36, v5
	v_cmp_ne_u64_e32 vcc, 0, v[2:3]
                                        ; implicit-def: $vgpr6_vgpr7
	s_and_saveexec_b64 s[2:3], vcc
	s_xor_b64 s[26:27], exec, s[2:3]
	s_cbranch_execz .LBB55_14
; %bb.13:                               ;   in Loop: Header=BB55_4 Depth=1
	s_ashr_i32 s28, s36, 31
	s_add_u32 s2, s33, s28
	s_mov_b32 s29, s28
	s_addc_u32 s3, s36, s28
	s_xor_b64 s[30:31], s[2:3], s[28:29]
	v_cvt_f32_u32_e32 v3, s30
	v_cvt_f32_u32_e32 v6, s31
	s_sub_u32 s2, 0, s30
	s_subb_u32 s3, 0, s31
	v_mac_f32_e32 v3, 0x4f800000, v6
	v_rcp_f32_e32 v3, v3
	v_mul_f32_e32 v3, 0x5f7ffffc, v3
	v_mul_f32_e32 v6, 0x2f800000, v3
	v_trunc_f32_e32 v6, v6
	v_mac_f32_e32 v3, 0xcf800000, v6
	v_cvt_u32_f32_e32 v6, v6
	v_cvt_u32_f32_e32 v3, v3
	v_mul_lo_u32 v7, s2, v6
	v_mul_hi_u32 v9, s2, v3
	v_mul_lo_u32 v8, s3, v3
	v_add_u32_e32 v7, v9, v7
	v_mul_lo_u32 v10, s2, v3
	v_add_u32_e32 v7, v7, v8
	v_mul_lo_u32 v9, v3, v7
	v_mul_hi_u32 v11, v3, v10
	v_mul_hi_u32 v8, v3, v7
	v_add_co_u32_e32 v9, vcc, v11, v9
	v_addc_co_u32_e32 v8, vcc, 0, v8, vcc
	v_mul_hi_u32 v12, v6, v10
	v_mul_lo_u32 v10, v6, v10
	v_add_co_u32_e32 v9, vcc, v9, v10
	v_mul_hi_u32 v11, v6, v7
	v_addc_co_u32_e32 v8, vcc, v8, v12, vcc
	v_addc_co_u32_e32 v9, vcc, 0, v11, vcc
	v_mul_lo_u32 v7, v6, v7
	v_add_co_u32_e32 v7, vcc, v8, v7
	v_addc_co_u32_e32 v8, vcc, 0, v9, vcc
	v_add_co_u32_e32 v3, vcc, v3, v7
	v_addc_co_u32_e32 v6, vcc, v6, v8, vcc
	v_mul_lo_u32 v7, s2, v6
	v_mul_hi_u32 v8, s2, v3
	v_add_u32_e32 v7, v8, v7
	v_mul_lo_u32 v8, s3, v3
	v_add_u32_e32 v7, v7, v8
	v_mul_lo_u32 v9, s2, v3
	v_mul_hi_u32 v10, v6, v9
	v_mul_lo_u32 v11, v6, v9
	v_mul_lo_u32 v13, v3, v7
	v_mul_hi_u32 v9, v3, v9
	v_mul_hi_u32 v12, v3, v7
	v_add_co_u32_e32 v9, vcc, v9, v13
	v_addc_co_u32_e32 v12, vcc, 0, v12, vcc
	v_add_co_u32_e32 v9, vcc, v9, v11
	v_mul_hi_u32 v8, v6, v7
	v_addc_co_u32_e32 v9, vcc, v12, v10, vcc
	v_addc_co_u32_e32 v8, vcc, 0, v8, vcc
	v_mul_lo_u32 v7, v6, v7
	v_add_co_u32_e32 v7, vcc, v9, v7
	v_addc_co_u32_e32 v8, vcc, 0, v8, vcc
	v_add_co_u32_e32 v3, vcc, v3, v7
	v_addc_co_u32_e32 v6, vcc, v6, v8, vcc
	v_ashrrev_i32_e32 v8, 31, v5
	v_add_co_u32_e32 v4, vcc, v4, v8
	v_addc_co_u32_e32 v5, vcc, v5, v8, vcc
	v_xor_b32_e32 v10, v4, v8
	v_xor_b32_e32 v9, v5, v8
	v_mad_u64_u32 v[4:5], s[2:3], v10, v6, 0
	v_mul_hi_u32 v7, v10, v3
	v_add_co_u32_e32 v11, vcc, v7, v4
	v_addc_co_u32_e32 v12, vcc, 0, v5, vcc
	v_mad_u64_u32 v[4:5], s[2:3], v9, v6, 0
	v_mad_u64_u32 v[6:7], s[2:3], v9, v3, 0
	v_add_co_u32_e32 v3, vcc, v11, v6
	v_addc_co_u32_e32 v3, vcc, v12, v7, vcc
	v_addc_co_u32_e32 v5, vcc, 0, v5, vcc
	v_add_co_u32_e32 v3, vcc, v3, v4
	v_addc_co_u32_e32 v4, vcc, 0, v5, vcc
	v_mul_lo_u32 v6, s31, v3
	v_mul_lo_u32 v7, s30, v4
	v_mad_u64_u32 v[4:5], s[2:3], s30, v3, 0
	v_add3_u32 v5, v5, v7, v6
	v_sub_u32_e32 v6, v9, v5
	v_mov_b32_e32 v7, s31
	v_sub_co_u32_e32 v4, vcc, v10, v4
	v_subb_co_u32_e64 v6, s[2:3], v6, v7, vcc
	v_subrev_co_u32_e64 v7, s[2:3], s30, v4
	v_subbrev_co_u32_e64 v6, s[2:3], 0, v6, s[2:3]
	v_cmp_le_u32_e64 s[2:3], s31, v6
	v_subb_co_u32_e32 v5, vcc, v9, v5, vcc
	v_cndmask_b32_e64 v10, 0, -1, s[2:3]
	v_cmp_le_u32_e64 s[2:3], s30, v7
	v_cmp_le_u32_e32 vcc, s31, v5
	v_cndmask_b32_e64 v7, 0, -1, s[2:3]
	v_cmp_eq_u32_e64 s[2:3], s31, v6
	v_cndmask_b32_e64 v9, 0, -1, vcc
	v_cmp_le_u32_e32 vcc, s30, v4
	v_cndmask_b32_e64 v6, v10, v7, s[2:3]
	v_cndmask_b32_e64 v4, 0, -1, vcc
	v_cmp_eq_u32_e32 vcc, s31, v5
	v_add_co_u32_e64 v7, s[2:3], 2, v3
	v_add_co_u32_e64 v10, s[2:3], 1, v3
	v_cndmask_b32_e32 v4, v9, v4, vcc
	v_cmp_ne_u32_e32 vcc, 0, v6
	v_cndmask_b32_e32 v5, v10, v7, vcc
	v_cmp_ne_u32_e32 vcc, 0, v4
	v_cndmask_b32_e32 v3, v3, v5, vcc
	v_xor_b32_e32 v4, s28, v8
	v_xor_b32_e32 v3, v3, v4
	v_sub_co_u32_e32 v6, vcc, v3, v4
                                        ; implicit-def: $vgpr4_vgpr5
.LBB55_14:                              ;   in Loop: Header=BB55_4 Depth=1
	s_andn2_saveexec_b64 s[2:3], s[26:27]
	s_cbranch_execz .LBB55_2
; %bb.15:                               ;   in Loop: Header=BB55_4 Depth=1
	v_cvt_f32_u32_e32 v3, s33
	s_sub_i32 s26, 0, s33
	v_rcp_iflag_f32_e32 v3, v3
	v_mul_f32_e32 v3, 0x4f7ffffe, v3
	v_cvt_u32_f32_e32 v3, v3
	v_mul_lo_u32 v5, s26, v3
	v_mul_hi_u32 v5, v3, v5
	v_add_u32_e32 v3, v3, v5
	v_mul_hi_u32 v3, v4, v3
	v_mul_lo_u32 v5, v3, s33
	v_sub_u32_e32 v4, v4, v5
	v_add_u32_e32 v6, 1, v3
	v_subrev_u32_e32 v5, s33, v4
	v_cmp_le_u32_e32 vcc, s33, v4
	v_cndmask_b32_e32 v4, v4, v5, vcc
	v_cndmask_b32_e32 v3, v3, v6, vcc
	v_add_u32_e32 v5, 1, v3
	v_cmp_le_u32_e32 vcc, s33, v4
	v_cndmask_b32_e32 v6, v3, v5, vcc
	s_branch .LBB55_2
.LBB55_16:
	s_endpgm
	.section	.rodata,"a",@progbits
	.p2align	6, 0x0
	.amdhsa_kernel _ZN2at4cuda17kernelHistogram1DIlslLi1ELi2ELin1ELNS0_23CUDAHistogramMemoryTypeE1EZNS0_21CUDA_tensor_histogramIlsLb0EEEbNS_6TensorES4_S4_lNS_14AccumulateTypeIT0_Lb1EE4typeES8_NS0_13TensorArgTypeES9_S9_EUllE0_EEvNS0_6detail10TensorInfoIT_T1_EESF_NSC_IKS6_SE_EElS8_S8_SE_T6_
		.amdhsa_group_segment_fixed_size 0
		.amdhsa_private_segment_fixed_size 0
		.amdhsa_kernarg_size 1544
		.amdhsa_user_sgpr_count 6
		.amdhsa_user_sgpr_private_segment_buffer 1
		.amdhsa_user_sgpr_dispatch_ptr 0
		.amdhsa_user_sgpr_queue_ptr 0
		.amdhsa_user_sgpr_kernarg_segment_ptr 1
		.amdhsa_user_sgpr_dispatch_id 0
		.amdhsa_user_sgpr_flat_scratch_init 0
		.amdhsa_user_sgpr_kernarg_preload_length 0
		.amdhsa_user_sgpr_kernarg_preload_offset 0
		.amdhsa_user_sgpr_private_segment_size 0
		.amdhsa_uses_dynamic_stack 0
		.amdhsa_system_sgpr_private_segment_wavefront_offset 0
		.amdhsa_system_sgpr_workgroup_id_x 1
		.amdhsa_system_sgpr_workgroup_id_y 0
		.amdhsa_system_sgpr_workgroup_id_z 0
		.amdhsa_system_sgpr_workgroup_info 0
		.amdhsa_system_vgpr_workitem_id 0
		.amdhsa_next_free_vgpr 18
		.amdhsa_next_free_sgpr 41
		.amdhsa_accum_offset 20
		.amdhsa_reserve_vcc 1
		.amdhsa_reserve_flat_scratch 0
		.amdhsa_float_round_mode_32 0
		.amdhsa_float_round_mode_16_64 0
		.amdhsa_float_denorm_mode_32 3
		.amdhsa_float_denorm_mode_16_64 3
		.amdhsa_dx10_clamp 1
		.amdhsa_ieee_mode 1
		.amdhsa_fp16_overflow 0
		.amdhsa_tg_split 0
		.amdhsa_exception_fp_ieee_invalid_op 0
		.amdhsa_exception_fp_denorm_src 0
		.amdhsa_exception_fp_ieee_div_zero 0
		.amdhsa_exception_fp_ieee_overflow 0
		.amdhsa_exception_fp_ieee_underflow 0
		.amdhsa_exception_fp_ieee_inexact 0
		.amdhsa_exception_int_div_zero 0
	.end_amdhsa_kernel
	.section	.text._ZN2at4cuda17kernelHistogram1DIlslLi1ELi2ELin1ELNS0_23CUDAHistogramMemoryTypeE1EZNS0_21CUDA_tensor_histogramIlsLb0EEEbNS_6TensorES4_S4_lNS_14AccumulateTypeIT0_Lb1EE4typeES8_NS0_13TensorArgTypeES9_S9_EUllE0_EEvNS0_6detail10TensorInfoIT_T1_EESF_NSC_IKS6_SE_EElS8_S8_SE_T6_,"axG",@progbits,_ZN2at4cuda17kernelHistogram1DIlslLi1ELi2ELin1ELNS0_23CUDAHistogramMemoryTypeE1EZNS0_21CUDA_tensor_histogramIlsLb0EEEbNS_6TensorES4_S4_lNS_14AccumulateTypeIT0_Lb1EE4typeES8_NS0_13TensorArgTypeES9_S9_EUllE0_EEvNS0_6detail10TensorInfoIT_T1_EESF_NSC_IKS6_SE_EElS8_S8_SE_T6_,comdat
.Lfunc_end55:
	.size	_ZN2at4cuda17kernelHistogram1DIlslLi1ELi2ELin1ELNS0_23CUDAHistogramMemoryTypeE1EZNS0_21CUDA_tensor_histogramIlsLb0EEEbNS_6TensorES4_S4_lNS_14AccumulateTypeIT0_Lb1EE4typeES8_NS0_13TensorArgTypeES9_S9_EUllE0_EEvNS0_6detail10TensorInfoIT_T1_EESF_NSC_IKS6_SE_EElS8_S8_SE_T6_, .Lfunc_end55-_ZN2at4cuda17kernelHistogram1DIlslLi1ELi2ELin1ELNS0_23CUDAHistogramMemoryTypeE1EZNS0_21CUDA_tensor_histogramIlsLb0EEEbNS_6TensorES4_S4_lNS_14AccumulateTypeIT0_Lb1EE4typeES8_NS0_13TensorArgTypeES9_S9_EUllE0_EEvNS0_6detail10TensorInfoIT_T1_EESF_NSC_IKS6_SE_EElS8_S8_SE_T6_
                                        ; -- End function
	.section	.AMDGPU.csdata,"",@progbits
; Kernel info:
; codeLenInByte = 2228
; NumSgprs: 45
; NumVgprs: 18
; NumAgprs: 0
; TotalNumVgprs: 18
; ScratchSize: 0
; MemoryBound: 0
; FloatMode: 240
; IeeeMode: 1
; LDSByteSize: 0 bytes/workgroup (compile time only)
; SGPRBlocks: 5
; VGPRBlocks: 2
; NumSGPRsForWavesPerEU: 45
; NumVGPRsForWavesPerEU: 18
; AccumOffset: 20
; Occupancy: 8
; WaveLimiterHint : 1
; COMPUTE_PGM_RSRC2:SCRATCH_EN: 0
; COMPUTE_PGM_RSRC2:USER_SGPR: 6
; COMPUTE_PGM_RSRC2:TRAP_HANDLER: 0
; COMPUTE_PGM_RSRC2:TGID_X_EN: 1
; COMPUTE_PGM_RSRC2:TGID_Y_EN: 0
; COMPUTE_PGM_RSRC2:TGID_Z_EN: 0
; COMPUTE_PGM_RSRC2:TIDIG_COMP_CNT: 0
; COMPUTE_PGM_RSRC3_GFX90A:ACCUM_OFFSET: 4
; COMPUTE_PGM_RSRC3_GFX90A:TG_SPLIT: 0
	.section	.text._ZN2at4cuda17kernelHistogram1DIdslLi1ELi2ELin1ELNS0_23CUDAHistogramMemoryTypeE0EZNS0_21CUDA_tensor_histogramIdsLb1EEEbNS_6TensorES4_S4_lNS_14AccumulateTypeIT0_Lb1EE4typeES8_NS0_13TensorArgTypeES9_S9_EUllE_EEvNS0_6detail10TensorInfoIT_T1_EESF_NSC_IKS6_SE_EElS8_S8_SE_T6_,"axG",@progbits,_ZN2at4cuda17kernelHistogram1DIdslLi1ELi2ELin1ELNS0_23CUDAHistogramMemoryTypeE0EZNS0_21CUDA_tensor_histogramIdsLb1EEEbNS_6TensorES4_S4_lNS_14AccumulateTypeIT0_Lb1EE4typeES8_NS0_13TensorArgTypeES9_S9_EUllE_EEvNS0_6detail10TensorInfoIT_T1_EESF_NSC_IKS6_SE_EElS8_S8_SE_T6_,comdat
	.protected	_ZN2at4cuda17kernelHistogram1DIdslLi1ELi2ELin1ELNS0_23CUDAHistogramMemoryTypeE0EZNS0_21CUDA_tensor_histogramIdsLb1EEEbNS_6TensorES4_S4_lNS_14AccumulateTypeIT0_Lb1EE4typeES8_NS0_13TensorArgTypeES9_S9_EUllE_EEvNS0_6detail10TensorInfoIT_T1_EESF_NSC_IKS6_SE_EElS8_S8_SE_T6_ ; -- Begin function _ZN2at4cuda17kernelHistogram1DIdslLi1ELi2ELin1ELNS0_23CUDAHistogramMemoryTypeE0EZNS0_21CUDA_tensor_histogramIdsLb1EEEbNS_6TensorES4_S4_lNS_14AccumulateTypeIT0_Lb1EE4typeES8_NS0_13TensorArgTypeES9_S9_EUllE_EEvNS0_6detail10TensorInfoIT_T1_EESF_NSC_IKS6_SE_EElS8_S8_SE_T6_
	.globl	_ZN2at4cuda17kernelHistogram1DIdslLi1ELi2ELin1ELNS0_23CUDAHistogramMemoryTypeE0EZNS0_21CUDA_tensor_histogramIdsLb1EEEbNS_6TensorES4_S4_lNS_14AccumulateTypeIT0_Lb1EE4typeES8_NS0_13TensorArgTypeES9_S9_EUllE_EEvNS0_6detail10TensorInfoIT_T1_EESF_NSC_IKS6_SE_EElS8_S8_SE_T6_
	.p2align	8
	.type	_ZN2at4cuda17kernelHistogram1DIdslLi1ELi2ELin1ELNS0_23CUDAHistogramMemoryTypeE0EZNS0_21CUDA_tensor_histogramIdsLb1EEEbNS_6TensorES4_S4_lNS_14AccumulateTypeIT0_Lb1EE4typeES8_NS0_13TensorArgTypeES9_S9_EUllE_EEvNS0_6detail10TensorInfoIT_T1_EESF_NSC_IKS6_SE_EElS8_S8_SE_T6_,@function
_ZN2at4cuda17kernelHistogram1DIdslLi1ELi2ELin1ELNS0_23CUDAHistogramMemoryTypeE0EZNS0_21CUDA_tensor_histogramIdsLb1EEEbNS_6TensorES4_S4_lNS_14AccumulateTypeIT0_Lb1EE4typeES8_NS0_13TensorArgTypeES9_S9_EUllE_EEvNS0_6detail10TensorInfoIT_T1_EESF_NSC_IKS6_SE_EElS8_S8_SE_T6_: ; @_ZN2at4cuda17kernelHistogram1DIdslLi1ELi2ELin1ELNS0_23CUDAHistogramMemoryTypeE0EZNS0_21CUDA_tensor_histogramIdsLb1EEEbNS_6TensorES4_S4_lNS_14AccumulateTypeIT0_Lb1EE4typeES8_NS0_13TensorArgTypeES9_S9_EUllE_EEvNS0_6detail10TensorInfoIT_T1_EESF_NSC_IKS6_SE_EElS8_S8_SE_T6_
; %bb.0:
	s_load_dwordx4 s[16:19], s[4:5], 0x0
	s_load_dwordx2 s[20:21], s[4:5], 0x500
	s_load_dwordx8 s[8:15], s[4:5], 0x4e0
	v_mov_b32_e32 v1, 0
	s_add_u32 s2, s4, 0x6a0
	s_waitcnt lgkmcnt(0)
	v_cmp_gt_i64_e64 s[0:1], s[18:19], v[0:1]
	v_cmp_le_i64_e32 vcc, s[18:19], v[0:1]
	s_addc_u32 s3, s5, 0
                                        ; implicit-def: $sgpr7
                                        ; implicit-def: $sgpr28
	s_and_saveexec_b64 s[22:23], vcc
	s_xor_b64 s[22:23], exec, s[22:23]
	s_cbranch_execz .LBB56_2
; %bb.1:
	s_load_dword s7, s[2:3], 0xc
	s_waitcnt lgkmcnt(0)
	s_and_b32 s28, s7, 0xffff
.LBB56_2:
	s_or_saveexec_b64 s[26:27], s[22:23]
	s_load_dwordx2 s[22:23], s[4:5], 0xd0
	s_load_dwordx2 s[24:25], s[4:5], 0x5d0
	v_mov_b32_e32 v7, s7
	v_mov_b32_e32 v15, s28
	v_lshl_add_u32 v14, v0, 3, 0
	s_xor_b64 exec, exec, s[26:27]
	s_cbranch_execz .LBB56_6
; %bb.3:
	s_load_dword s7, s[2:3], 0xc
	s_mov_b32 s33, 0
	v_mov_b32_e32 v2, 0
	v_lshl_add_u32 v6, v0, 3, 0
	s_mov_b64 s[28:29], 0
	s_waitcnt lgkmcnt(0)
	s_and_b32 s30, s7, 0xffff
	s_lshl_b32 s31, s30, 3
	v_mov_b32_e32 v3, v2
	v_mov_b32_e32 v7, s33
	v_pk_mov_b32 v[4:5], v[0:1], v[0:1] op_sel:[0,1]
.LBB56_4:                               ; =>This Inner Loop Header: Depth=1
	v_add_co_u32_e32 v4, vcc, s30, v4
	v_addc_co_u32_e32 v5, vcc, v5, v7, vcc
	v_cmp_le_i64_e32 vcc, s[18:19], v[4:5]
	ds_write_b64 v6, v[2:3]
	s_or_b64 s[28:29], vcc, s[28:29]
	v_add_u32_e32 v6, s31, v6
	s_andn2_b64 exec, exec, s[28:29]
	s_cbranch_execnz .LBB56_4
; %bb.5:
	s_or_b64 exec, exec, s[28:29]
	v_mov_b32_e32 v7, s7
	v_mov_b32_e32 v15, s30
.LBB56_6:
	s_or_b64 exec, exec, s[26:27]
	v_mad_u64_u32 v[2:3], s[6:7], s6, v15, v[0:1]
	v_mov_b32_e32 v4, 0
	v_mov_b32_e32 v3, v4
	v_cmp_gt_i64_e32 vcc, s[14:15], v[2:3]
	s_waitcnt lgkmcnt(0)
	s_barrier
	s_and_saveexec_b64 s[6:7], vcc
	s_cbranch_execz .LBB56_22
; %bb.7:
	s_load_dword s30, s[4:5], 0x4d8
	s_load_dwordx2 s[26:27], s[4:5], 0x410
	s_load_dwordx2 s[28:29], s[4:5], 0x340
	s_add_u32 s31, s4, 0x340
	s_addc_u32 s35, s5, 0
	s_waitcnt lgkmcnt(0)
	s_cmp_gt_i32 s30, 1
	s_load_dword s34, s[2:3], 0x0
	s_cselect_b64 s[2:3], -1, 0
	s_sub_u32 s33, s12, s10
	s_subb_u32 s48, s13, s11
	s_mov_b32 s5, 0
	s_add_i32 s4, s30, -1
	s_add_i32 s49, s30, 1
	s_lshl_b64 s[4:5], s[4:5], 3
	s_add_u32 s4, s4, s31
	s_addc_u32 s5, s5, s35
	s_add_u32 s30, s4, 8
	v_cndmask_b32_e64 v5, 0, 1, s[2:3]
	s_waitcnt lgkmcnt(0)
	v_mul_lo_u32 v6, s34, v15
	s_addc_u32 s31, s5, 0
	s_mov_b64 s[34:35], 0
	v_cmp_ne_u32_e64 s[2:3], 1, v5
	s_mov_b64 s[36:37], src_shared_base
	s_branch .LBB56_10
.LBB56_8:                               ;   in Loop: Header=BB56_10 Depth=1
	s_or_b64 exec, exec, s[4:5]
	v_mul_lo_u32 v5, v3, s24
	v_mul_lo_u32 v11, v2, s25
	v_mad_u64_u32 v[8:9], s[4:5], v2, s24, 0
	v_add3_u32 v9, v9, v11, v5
	v_lshlrev_b64 v[8:9], 3, v[8:9]
	v_mov_b32_e32 v5, s21
	v_add_co_u32_e32 v8, vcc, s20, v8
	v_addc_co_u32_e32 v9, vcc, v5, v9, vcc
	global_load_dwordx2 v[8:9], v[8:9], off
	v_ashrrev_i32_e32 v11, 31, v10
	v_cmp_eq_u64_e32 vcc, s[8:9], v[10:11]
	v_subbrev_co_u32_e32 v5, vcc, 0, v10, vcc
	v_lshl_add_u32 v10, v5, 3, 0
	v_mov_b32_e32 v11, s37
	s_waitcnt vmcnt(0)
	flat_atomic_add_f64 v[10:11], v[8:9]
.LBB56_9:                               ;   in Loop: Header=BB56_10 Depth=1
	s_or_b64 exec, exec, s[38:39]
	v_add_co_u32_e32 v2, vcc, v2, v6
	v_addc_co_u32_e32 v3, vcc, 0, v3, vcc
	v_cmp_le_i64_e32 vcc, s[14:15], v[2:3]
	s_or_b64 s[34:35], vcc, s[34:35]
	s_andn2_b64 exec, exec, s[34:35]
	s_cbranch_execz .LBB56_22
.LBB56_10:                              ; =>This Loop Header: Depth=1
                                        ;     Child Loop BB56_11 Depth 2
	s_and_b64 vcc, exec, s[2:3]
	v_pk_mov_b32 v[8:9], 0, 0
	s_mov_b64 s[38:39], s[30:31]
	s_mov_b32 s36, s49
	v_pk_mov_b32 v[10:11], v[2:3], v[2:3] op_sel:[0,1]
	v_pk_mov_b32 v[12:13], v[2:3], v[2:3] op_sel:[0,1]
	s_cbranch_vccnz .LBB56_17
.LBB56_11:                              ;   Parent Loop BB56_10 Depth=1
                                        ; =>  This Inner Loop Header: Depth=2
	s_load_dwordx2 s[40:41], s[38:39], 0x0
                                        ; implicit-def: $vgpr12_vgpr13
	s_waitcnt lgkmcnt(0)
	v_or_b32_e32 v5, s41, v11
	v_cmp_ne_u64_e32 vcc, 0, v[4:5]
	s_and_saveexec_b64 s[4:5], vcc
	s_xor_b64 s[42:43], exec, s[4:5]
	s_cbranch_execz .LBB56_13
; %bb.12:                               ;   in Loop: Header=BB56_11 Depth=2
	s_ashr_i32 s44, s41, 31
	s_add_u32 s4, s40, s44
	s_mov_b32 s45, s44
	s_addc_u32 s5, s41, s44
	s_xor_b64 s[46:47], s[4:5], s[44:45]
	v_cvt_f32_u32_e32 v5, s46
	v_cvt_f32_u32_e32 v12, s47
	s_sub_u32 s4, 0, s46
	s_subb_u32 s5, 0, s47
	v_mac_f32_e32 v5, 0x4f800000, v12
	v_rcp_f32_e32 v5, v5
	v_mul_f32_e32 v5, 0x5f7ffffc, v5
	v_mul_f32_e32 v12, 0x2f800000, v5
	v_trunc_f32_e32 v12, v12
	v_mac_f32_e32 v5, 0xcf800000, v12
	v_cvt_u32_f32_e32 v12, v12
	v_cvt_u32_f32_e32 v5, v5
	v_mul_lo_u32 v13, s4, v12
	v_mul_hi_u32 v17, s4, v5
	v_mul_lo_u32 v16, s5, v5
	v_add_u32_e32 v13, v17, v13
	v_mul_lo_u32 v18, s4, v5
	v_add_u32_e32 v13, v13, v16
	v_mul_lo_u32 v17, v5, v13
	v_mul_hi_u32 v19, v5, v18
	v_mul_hi_u32 v16, v5, v13
	v_add_co_u32_e32 v17, vcc, v19, v17
	v_addc_co_u32_e32 v16, vcc, 0, v16, vcc
	v_mul_hi_u32 v20, v12, v18
	v_mul_lo_u32 v18, v12, v18
	v_add_co_u32_e32 v17, vcc, v17, v18
	v_mul_hi_u32 v19, v12, v13
	v_addc_co_u32_e32 v16, vcc, v16, v20, vcc
	v_addc_co_u32_e32 v17, vcc, 0, v19, vcc
	v_mul_lo_u32 v13, v12, v13
	v_add_co_u32_e32 v13, vcc, v16, v13
	v_addc_co_u32_e32 v16, vcc, 0, v17, vcc
	v_add_co_u32_e32 v5, vcc, v5, v13
	v_addc_co_u32_e32 v12, vcc, v12, v16, vcc
	v_mul_lo_u32 v13, s4, v12
	v_mul_hi_u32 v16, s4, v5
	v_add_u32_e32 v13, v16, v13
	v_mul_lo_u32 v16, s5, v5
	v_add_u32_e32 v13, v13, v16
	v_mul_lo_u32 v17, s4, v5
	v_mul_hi_u32 v18, v12, v17
	v_mul_lo_u32 v19, v12, v17
	v_mul_lo_u32 v21, v5, v13
	v_mul_hi_u32 v17, v5, v17
	v_mul_hi_u32 v20, v5, v13
	v_add_co_u32_e32 v17, vcc, v17, v21
	v_addc_co_u32_e32 v20, vcc, 0, v20, vcc
	v_add_co_u32_e32 v17, vcc, v17, v19
	v_mul_hi_u32 v16, v12, v13
	v_addc_co_u32_e32 v17, vcc, v20, v18, vcc
	v_addc_co_u32_e32 v16, vcc, 0, v16, vcc
	v_mul_lo_u32 v13, v12, v13
	v_add_co_u32_e32 v13, vcc, v17, v13
	v_addc_co_u32_e32 v16, vcc, 0, v16, vcc
	v_add_co_u32_e32 v5, vcc, v5, v13
	v_addc_co_u32_e32 v16, vcc, v12, v16, vcc
	v_ashrrev_i32_e32 v18, 31, v11
	v_add_co_u32_e32 v12, vcc, v10, v18
	v_addc_co_u32_e32 v13, vcc, v11, v18, vcc
	v_xor_b32_e32 v20, v12, v18
	v_xor_b32_e32 v19, v13, v18
	v_mad_u64_u32 v[12:13], s[4:5], v20, v16, 0
	v_mul_hi_u32 v17, v20, v5
	v_add_co_u32_e32 v21, vcc, v17, v12
	v_addc_co_u32_e32 v22, vcc, 0, v13, vcc
	v_mad_u64_u32 v[12:13], s[4:5], v19, v16, 0
	v_mad_u64_u32 v[16:17], s[4:5], v19, v5, 0
	v_add_co_u32_e32 v5, vcc, v21, v16
	v_addc_co_u32_e32 v5, vcc, v22, v17, vcc
	v_addc_co_u32_e32 v13, vcc, 0, v13, vcc
	v_add_co_u32_e32 v5, vcc, v5, v12
	v_addc_co_u32_e32 v16, vcc, 0, v13, vcc
	v_mul_lo_u32 v17, s47, v5
	v_mul_lo_u32 v21, s46, v16
	v_mad_u64_u32 v[12:13], s[4:5], s46, v5, 0
	v_add3_u32 v13, v13, v21, v17
	v_sub_u32_e32 v17, v19, v13
	v_mov_b32_e32 v21, s47
	v_sub_co_u32_e32 v12, vcc, v20, v12
	v_subb_co_u32_e64 v17, s[4:5], v17, v21, vcc
	v_subrev_co_u32_e64 v20, s[4:5], s46, v12
	v_subbrev_co_u32_e64 v17, s[4:5], 0, v17, s[4:5]
	v_cmp_le_u32_e64 s[4:5], s47, v17
	v_cndmask_b32_e64 v21, 0, -1, s[4:5]
	v_cmp_le_u32_e64 s[4:5], s46, v20
	v_cndmask_b32_e64 v20, 0, -1, s[4:5]
	v_cmp_eq_u32_e64 s[4:5], s47, v17
	v_cndmask_b32_e64 v17, v21, v20, s[4:5]
	v_add_co_u32_e64 v20, s[4:5], 2, v5
	v_subb_co_u32_e32 v13, vcc, v19, v13, vcc
	v_addc_co_u32_e64 v21, s[4:5], 0, v16, s[4:5]
	v_cmp_le_u32_e32 vcc, s47, v13
	v_add_co_u32_e64 v22, s[4:5], 1, v5
	v_cndmask_b32_e64 v19, 0, -1, vcc
	v_cmp_le_u32_e32 vcc, s46, v12
	v_addc_co_u32_e64 v23, s[4:5], 0, v16, s[4:5]
	v_cndmask_b32_e64 v12, 0, -1, vcc
	v_cmp_eq_u32_e32 vcc, s47, v13
	v_cmp_ne_u32_e64 s[4:5], 0, v17
	v_cndmask_b32_e32 v12, v19, v12, vcc
	v_cmp_ne_u32_e32 vcc, 0, v12
	v_cndmask_b32_e64 v13, v22, v20, s[4:5]
	v_cndmask_b32_e64 v17, v23, v21, s[4:5]
	v_cndmask_b32_e32 v5, v5, v13, vcc
	v_xor_b32_e32 v13, s44, v18
	v_cndmask_b32_e32 v12, v16, v17, vcc
	v_xor_b32_e32 v5, v5, v13
	v_xor_b32_e32 v16, v12, v13
	v_sub_co_u32_e32 v12, vcc, v5, v13
	v_subb_co_u32_e32 v13, vcc, v16, v13, vcc
.LBB56_13:                              ;   in Loop: Header=BB56_11 Depth=2
	s_andn2_saveexec_b64 s[4:5], s[42:43]
	s_cbranch_execz .LBB56_15
; %bb.14:                               ;   in Loop: Header=BB56_11 Depth=2
	v_cvt_f32_u32_e32 v5, s40
	s_sub_i32 s42, 0, s40
	v_rcp_iflag_f32_e32 v5, v5
	v_mul_f32_e32 v5, 0x4f7ffffe, v5
	v_cvt_u32_f32_e32 v5, v5
	v_mul_lo_u32 v12, s42, v5
	v_mul_hi_u32 v12, v5, v12
	v_add_u32_e32 v5, v5, v12
	v_mul_hi_u32 v5, v10, v5
	v_mul_lo_u32 v12, v5, s40
	v_sub_u32_e32 v12, v10, v12
	v_add_u32_e32 v13, 1, v5
	v_subrev_u32_e32 v16, s40, v12
	v_cmp_le_u32_e32 vcc, s40, v12
	v_cndmask_b32_e32 v12, v12, v16, vcc
	v_cndmask_b32_e32 v5, v5, v13, vcc
	v_add_u32_e32 v13, 1, v5
	v_cmp_le_u32_e32 vcc, s40, v12
	v_cndmask_b32_e32 v12, v5, v13, vcc
	v_mov_b32_e32 v13, v4
.LBB56_15:                              ;   in Loop: Header=BB56_11 Depth=2
	s_or_b64 exec, exec, s[4:5]
	v_mad_u64_u32 v[16:17], s[4:5], v12, s40, 0
	s_load_dwordx2 s[4:5], s[38:39], 0xc8
	v_mul_lo_u32 v5, v13, s40
	v_mul_lo_u32 v18, v12, s41
	v_add3_u32 v5, v17, v18, v5
	v_sub_co_u32_e32 v10, vcc, v10, v16
	s_add_i32 s36, s36, -1
	v_subb_co_u32_e32 v5, vcc, v11, v5, vcc
	s_add_u32 s38, s38, -8
	s_waitcnt lgkmcnt(0)
	v_mul_lo_u32 v5, s4, v5
	v_mul_lo_u32 v11, s5, v10
	v_mad_u64_u32 v[8:9], s[4:5], s4, v10, v[8:9]
	s_addc_u32 s39, s39, -1
	s_cmp_gt_u32 s36, 2
	v_add3_u32 v9, v11, v9, v5
	s_cbranch_scc0 .LBB56_17
; %bb.16:                               ;   in Loop: Header=BB56_11 Depth=2
	v_pk_mov_b32 v[10:11], v[12:13], v[12:13] op_sel:[0,1]
	s_branch .LBB56_11
.LBB56_17:                              ;   in Loop: Header=BB56_10 Depth=1
	v_mul_lo_u32 v5, s27, v12
	v_mul_lo_u32 v13, s26, v13
	v_mad_u64_u32 v[10:11], s[4:5], s26, v12, 0
	v_add3_u32 v11, v11, v13, v5
	v_lshlrev_b64 v[10:11], 1, v[10:11]
	v_mov_b32_e32 v5, s29
	v_add_co_u32_e32 v10, vcc, s28, v10
	v_addc_co_u32_e32 v5, vcc, v5, v11, vcc
	v_lshlrev_b64 v[8:9], 1, v[8:9]
	v_add_co_u32_e32 v8, vcc, v10, v8
	v_addc_co_u32_e32 v9, vcc, v5, v9, vcc
	global_load_ushort v5, v[8:9], off
	s_waitcnt vmcnt(0)
	v_bfe_i32 v8, v5, 0, 16
	v_ashrrev_i32_e32 v9, 31, v8
	v_cmp_le_i64_e32 vcc, s[10:11], v[8:9]
	v_cmp_ge_i64_e64 s[4:5], s[12:13], v[8:9]
	s_and_b64 s[4:5], vcc, s[4:5]
	s_and_saveexec_b64 s[38:39], s[4:5]
	s_cbranch_execz .LBB56_9
; %bb.18:                               ;   in Loop: Header=BB56_10 Depth=1
	v_mov_b32_e32 v5, s11
	v_subrev_co_u32_e32 v8, vcc, s10, v8
	v_subb_co_u32_e32 v5, vcc, v9, v5, vcc
	v_mul_lo_u32 v5, v5, s8
	v_mul_lo_u32 v10, v8, s9
	v_mad_u64_u32 v[8:9], s[4:5], v8, s8, 0
	v_add3_u32 v9, v9, v10, v5
	v_or_b32_e32 v5, s48, v9
	v_cmp_ne_u64_e32 vcc, 0, v[4:5]
                                        ; implicit-def: $vgpr10_vgpr11
	s_and_saveexec_b64 s[4:5], vcc
	s_xor_b64 s[40:41], exec, s[4:5]
	s_cbranch_execz .LBB56_20
; %bb.19:                               ;   in Loop: Header=BB56_10 Depth=1
	s_ashr_i32 s42, s48, 31
	s_add_u32 s4, s33, s42
	s_mov_b32 s43, s42
	s_addc_u32 s5, s48, s42
	s_xor_b64 s[44:45], s[4:5], s[42:43]
	v_cvt_f32_u32_e32 v5, s44
	v_cvt_f32_u32_e32 v10, s45
	s_sub_u32 s4, 0, s44
	s_subb_u32 s5, 0, s45
	v_mac_f32_e32 v5, 0x4f800000, v10
	v_rcp_f32_e32 v5, v5
	v_mul_f32_e32 v5, 0x5f7ffffc, v5
	v_mul_f32_e32 v10, 0x2f800000, v5
	v_trunc_f32_e32 v10, v10
	v_mac_f32_e32 v5, 0xcf800000, v10
	v_cvt_u32_f32_e32 v10, v10
	v_cvt_u32_f32_e32 v5, v5
	v_mul_lo_u32 v11, s4, v10
	v_mul_hi_u32 v13, s4, v5
	v_mul_lo_u32 v12, s5, v5
	v_add_u32_e32 v11, v13, v11
	v_mul_lo_u32 v16, s4, v5
	v_add_u32_e32 v11, v11, v12
	v_mul_lo_u32 v13, v5, v11
	v_mul_hi_u32 v17, v5, v16
	v_mul_hi_u32 v12, v5, v11
	v_add_co_u32_e32 v13, vcc, v17, v13
	v_addc_co_u32_e32 v12, vcc, 0, v12, vcc
	v_mul_hi_u32 v18, v10, v16
	v_mul_lo_u32 v16, v10, v16
	v_add_co_u32_e32 v13, vcc, v13, v16
	v_mul_hi_u32 v17, v10, v11
	v_addc_co_u32_e32 v12, vcc, v12, v18, vcc
	v_addc_co_u32_e32 v13, vcc, 0, v17, vcc
	v_mul_lo_u32 v11, v10, v11
	v_add_co_u32_e32 v11, vcc, v12, v11
	v_addc_co_u32_e32 v12, vcc, 0, v13, vcc
	v_add_co_u32_e32 v5, vcc, v5, v11
	v_addc_co_u32_e32 v10, vcc, v10, v12, vcc
	v_mul_lo_u32 v11, s4, v10
	v_mul_hi_u32 v12, s4, v5
	v_add_u32_e32 v11, v12, v11
	v_mul_lo_u32 v12, s5, v5
	v_add_u32_e32 v11, v11, v12
	v_mul_lo_u32 v13, s4, v5
	v_mul_hi_u32 v16, v10, v13
	v_mul_lo_u32 v17, v10, v13
	v_mul_lo_u32 v19, v5, v11
	v_mul_hi_u32 v13, v5, v13
	v_mul_hi_u32 v18, v5, v11
	v_add_co_u32_e32 v13, vcc, v13, v19
	v_addc_co_u32_e32 v18, vcc, 0, v18, vcc
	v_add_co_u32_e32 v13, vcc, v13, v17
	v_mul_hi_u32 v12, v10, v11
	v_addc_co_u32_e32 v13, vcc, v18, v16, vcc
	v_addc_co_u32_e32 v12, vcc, 0, v12, vcc
	v_mul_lo_u32 v11, v10, v11
	v_add_co_u32_e32 v11, vcc, v13, v11
	v_addc_co_u32_e32 v12, vcc, 0, v12, vcc
	v_add_co_u32_e32 v5, vcc, v5, v11
	v_addc_co_u32_e32 v10, vcc, v10, v12, vcc
	v_ashrrev_i32_e32 v12, 31, v9
	v_add_co_u32_e32 v8, vcc, v8, v12
	v_addc_co_u32_e32 v9, vcc, v9, v12, vcc
	v_xor_b32_e32 v16, v8, v12
	v_xor_b32_e32 v13, v9, v12
	v_mad_u64_u32 v[8:9], s[4:5], v16, v10, 0
	v_mul_hi_u32 v11, v16, v5
	v_add_co_u32_e32 v17, vcc, v11, v8
	v_addc_co_u32_e32 v18, vcc, 0, v9, vcc
	v_mad_u64_u32 v[8:9], s[4:5], v13, v10, 0
	v_mad_u64_u32 v[10:11], s[4:5], v13, v5, 0
	v_add_co_u32_e32 v5, vcc, v17, v10
	v_addc_co_u32_e32 v5, vcc, v18, v11, vcc
	v_addc_co_u32_e32 v9, vcc, 0, v9, vcc
	v_add_co_u32_e32 v5, vcc, v5, v8
	v_addc_co_u32_e32 v8, vcc, 0, v9, vcc
	v_mul_lo_u32 v10, s45, v5
	v_mul_lo_u32 v11, s44, v8
	v_mad_u64_u32 v[8:9], s[4:5], s44, v5, 0
	v_add3_u32 v9, v9, v11, v10
	v_sub_u32_e32 v10, v13, v9
	v_mov_b32_e32 v11, s45
	v_sub_co_u32_e32 v8, vcc, v16, v8
	v_subb_co_u32_e64 v10, s[4:5], v10, v11, vcc
	v_subrev_co_u32_e64 v11, s[4:5], s44, v8
	v_subbrev_co_u32_e64 v10, s[4:5], 0, v10, s[4:5]
	v_cmp_le_u32_e64 s[4:5], s45, v10
	v_subb_co_u32_e32 v9, vcc, v13, v9, vcc
	v_cndmask_b32_e64 v16, 0, -1, s[4:5]
	v_cmp_le_u32_e64 s[4:5], s44, v11
	v_cmp_le_u32_e32 vcc, s45, v9
	v_cndmask_b32_e64 v11, 0, -1, s[4:5]
	v_cmp_eq_u32_e64 s[4:5], s45, v10
	v_cndmask_b32_e64 v13, 0, -1, vcc
	v_cmp_le_u32_e32 vcc, s44, v8
	v_cndmask_b32_e64 v10, v16, v11, s[4:5]
	v_cndmask_b32_e64 v8, 0, -1, vcc
	v_cmp_eq_u32_e32 vcc, s45, v9
	v_add_co_u32_e64 v11, s[4:5], 2, v5
	v_add_co_u32_e64 v16, s[4:5], 1, v5
	v_cndmask_b32_e32 v8, v13, v8, vcc
	v_cmp_ne_u32_e32 vcc, 0, v10
	v_cndmask_b32_e32 v9, v16, v11, vcc
	v_cmp_ne_u32_e32 vcc, 0, v8
	v_cndmask_b32_e32 v5, v5, v9, vcc
	v_xor_b32_e32 v8, s42, v12
	v_xor_b32_e32 v5, v5, v8
	v_sub_co_u32_e32 v10, vcc, v5, v8
                                        ; implicit-def: $vgpr8_vgpr9
.LBB56_20:                              ;   in Loop: Header=BB56_10 Depth=1
	s_andn2_saveexec_b64 s[4:5], s[40:41]
	s_cbranch_execz .LBB56_8
; %bb.21:                               ;   in Loop: Header=BB56_10 Depth=1
	v_cvt_f32_u32_e32 v5, s33
	s_sub_i32 s36, 0, s33
	v_rcp_iflag_f32_e32 v5, v5
	v_mul_f32_e32 v5, 0x4f7ffffe, v5
	v_cvt_u32_f32_e32 v5, v5
	v_mul_lo_u32 v9, s36, v5
	v_mul_hi_u32 v9, v5, v9
	v_add_u32_e32 v5, v5, v9
	v_mul_hi_u32 v5, v8, v5
	v_mul_lo_u32 v9, v5, s33
	v_sub_u32_e32 v8, v8, v9
	v_add_u32_e32 v10, 1, v5
	v_subrev_u32_e32 v9, s33, v8
	v_cmp_le_u32_e32 vcc, s33, v8
	v_cndmask_b32_e32 v8, v8, v9, vcc
	v_cndmask_b32_e32 v5, v5, v10, vcc
	v_add_u32_e32 v9, 1, v5
	v_cmp_le_u32_e32 vcc, s33, v8
	v_cndmask_b32_e32 v10, v5, v9, vcc
	s_branch .LBB56_8
.LBB56_22:
	s_or_b64 exec, exec, s[6:7]
; %bb.23:
	s_waitcnt lgkmcnt(0)
	s_barrier
	s_and_saveexec_b64 s[2:3], s[0:1]
	s_cbranch_execz .LBB56_26
; %bb.24:
	v_mad_u64_u32 v[4:5], s[0:1], s22, v0, 0
	v_mov_b32_e32 v6, v5
	v_and_b32_e32 v2, 0xffff, v7
	v_mad_u64_u32 v[6:7], s[0:1], s23, v0, v[6:7]
	v_mov_b32_e32 v5, v6
	v_mad_u64_u32 v[6:7], s[0:1], s22, v2, 0
	v_mov_b32_e32 v8, v7
	v_lshlrev_b64 v[4:5], 3, v[4:5]
	v_mad_u64_u32 v[8:9], s[0:1], s23, v2, v[8:9]
	v_mov_b32_e32 v3, s17
	v_add_co_u32_e32 v4, vcc, s16, v4
	v_mov_b32_e32 v7, v8
	v_addc_co_u32_e32 v5, vcc, v3, v5, vcc
	v_lshlrev_b64 v[6:7], 3, v[6:7]
	v_lshlrev_b32_e32 v3, 3, v15
	s_mov_b64 s[0:1], 0
.LBB56_25:                              ; =>This Inner Loop Header: Depth=1
	ds_read_b64 v[8:9], v14
	v_add_co_u32_e32 v0, vcc, v0, v2
	v_addc_co_u32_e32 v1, vcc, 0, v1, vcc
	s_waitcnt lgkmcnt(0)
	global_atomic_add_f64 v[4:5], v[8:9], off
	v_cmp_le_i64_e32 vcc, s[18:19], v[0:1]
	s_or_b64 s[0:1], vcc, s[0:1]
	v_add_co_u32_e32 v4, vcc, v4, v6
	v_add_u32_e32 v14, v14, v3
	v_addc_co_u32_e32 v5, vcc, v5, v7, vcc
	s_andn2_b64 exec, exec, s[0:1]
	s_cbranch_execnz .LBB56_25
.LBB56_26:
	s_endpgm
	.section	.rodata,"a",@progbits
	.p2align	6, 0x0
	.amdhsa_kernel _ZN2at4cuda17kernelHistogram1DIdslLi1ELi2ELin1ELNS0_23CUDAHistogramMemoryTypeE0EZNS0_21CUDA_tensor_histogramIdsLb1EEEbNS_6TensorES4_S4_lNS_14AccumulateTypeIT0_Lb1EE4typeES8_NS0_13TensorArgTypeES9_S9_EUllE_EEvNS0_6detail10TensorInfoIT_T1_EESF_NSC_IKS6_SE_EElS8_S8_SE_T6_
		.amdhsa_group_segment_fixed_size 0
		.amdhsa_private_segment_fixed_size 0
		.amdhsa_kernarg_size 1952
		.amdhsa_user_sgpr_count 6
		.amdhsa_user_sgpr_private_segment_buffer 1
		.amdhsa_user_sgpr_dispatch_ptr 0
		.amdhsa_user_sgpr_queue_ptr 0
		.amdhsa_user_sgpr_kernarg_segment_ptr 1
		.amdhsa_user_sgpr_dispatch_id 0
		.amdhsa_user_sgpr_flat_scratch_init 0
		.amdhsa_user_sgpr_kernarg_preload_length 0
		.amdhsa_user_sgpr_kernarg_preload_offset 0
		.amdhsa_user_sgpr_private_segment_size 0
		.amdhsa_uses_dynamic_stack 0
		.amdhsa_system_sgpr_private_segment_wavefront_offset 0
		.amdhsa_system_sgpr_workgroup_id_x 1
		.amdhsa_system_sgpr_workgroup_id_y 0
		.amdhsa_system_sgpr_workgroup_id_z 0
		.amdhsa_system_sgpr_workgroup_info 0
		.amdhsa_system_vgpr_workitem_id 0
		.amdhsa_next_free_vgpr 24
		.amdhsa_next_free_sgpr 50
		.amdhsa_accum_offset 24
		.amdhsa_reserve_vcc 1
		.amdhsa_reserve_flat_scratch 0
		.amdhsa_float_round_mode_32 0
		.amdhsa_float_round_mode_16_64 0
		.amdhsa_float_denorm_mode_32 3
		.amdhsa_float_denorm_mode_16_64 3
		.amdhsa_dx10_clamp 1
		.amdhsa_ieee_mode 1
		.amdhsa_fp16_overflow 0
		.amdhsa_tg_split 0
		.amdhsa_exception_fp_ieee_invalid_op 0
		.amdhsa_exception_fp_denorm_src 0
		.amdhsa_exception_fp_ieee_div_zero 0
		.amdhsa_exception_fp_ieee_overflow 0
		.amdhsa_exception_fp_ieee_underflow 0
		.amdhsa_exception_fp_ieee_inexact 0
		.amdhsa_exception_int_div_zero 0
	.end_amdhsa_kernel
	.section	.text._ZN2at4cuda17kernelHistogram1DIdslLi1ELi2ELin1ELNS0_23CUDAHistogramMemoryTypeE0EZNS0_21CUDA_tensor_histogramIdsLb1EEEbNS_6TensorES4_S4_lNS_14AccumulateTypeIT0_Lb1EE4typeES8_NS0_13TensorArgTypeES9_S9_EUllE_EEvNS0_6detail10TensorInfoIT_T1_EESF_NSC_IKS6_SE_EElS8_S8_SE_T6_,"axG",@progbits,_ZN2at4cuda17kernelHistogram1DIdslLi1ELi2ELin1ELNS0_23CUDAHistogramMemoryTypeE0EZNS0_21CUDA_tensor_histogramIdsLb1EEEbNS_6TensorES4_S4_lNS_14AccumulateTypeIT0_Lb1EE4typeES8_NS0_13TensorArgTypeES9_S9_EUllE_EEvNS0_6detail10TensorInfoIT_T1_EESF_NSC_IKS6_SE_EElS8_S8_SE_T6_,comdat
.Lfunc_end56:
	.size	_ZN2at4cuda17kernelHistogram1DIdslLi1ELi2ELin1ELNS0_23CUDAHistogramMemoryTypeE0EZNS0_21CUDA_tensor_histogramIdsLb1EEEbNS_6TensorES4_S4_lNS_14AccumulateTypeIT0_Lb1EE4typeES8_NS0_13TensorArgTypeES9_S9_EUllE_EEvNS0_6detail10TensorInfoIT_T1_EESF_NSC_IKS6_SE_EElS8_S8_SE_T6_, .Lfunc_end56-_ZN2at4cuda17kernelHistogram1DIdslLi1ELi2ELin1ELNS0_23CUDAHistogramMemoryTypeE0EZNS0_21CUDA_tensor_histogramIdsLb1EEEbNS_6TensorES4_S4_lNS_14AccumulateTypeIT0_Lb1EE4typeES8_NS0_13TensorArgTypeES9_S9_EUllE_EEvNS0_6detail10TensorInfoIT_T1_EESF_NSC_IKS6_SE_EElS8_S8_SE_T6_
                                        ; -- End function
	.section	.AMDGPU.csdata,"",@progbits
; Kernel info:
; codeLenInByte = 2596
; NumSgprs: 54
; NumVgprs: 24
; NumAgprs: 0
; TotalNumVgprs: 24
; ScratchSize: 0
; MemoryBound: 0
; FloatMode: 240
; IeeeMode: 1
; LDSByteSize: 0 bytes/workgroup (compile time only)
; SGPRBlocks: 6
; VGPRBlocks: 2
; NumSGPRsForWavesPerEU: 54
; NumVGPRsForWavesPerEU: 24
; AccumOffset: 24
; Occupancy: 8
; WaveLimiterHint : 1
; COMPUTE_PGM_RSRC2:SCRATCH_EN: 0
; COMPUTE_PGM_RSRC2:USER_SGPR: 6
; COMPUTE_PGM_RSRC2:TRAP_HANDLER: 0
; COMPUTE_PGM_RSRC2:TGID_X_EN: 1
; COMPUTE_PGM_RSRC2:TGID_Y_EN: 0
; COMPUTE_PGM_RSRC2:TGID_Z_EN: 0
; COMPUTE_PGM_RSRC2:TIDIG_COMP_CNT: 0
; COMPUTE_PGM_RSRC3_GFX90A:ACCUM_OFFSET: 5
; COMPUTE_PGM_RSRC3_GFX90A:TG_SPLIT: 0
	.section	.text._ZN2at4cuda17kernelHistogram1DIdslLi1ELi2ELin1ELNS0_23CUDAHistogramMemoryTypeE1EZNS0_21CUDA_tensor_histogramIdsLb1EEEbNS_6TensorES4_S4_lNS_14AccumulateTypeIT0_Lb1EE4typeES8_NS0_13TensorArgTypeES9_S9_EUllE_EEvNS0_6detail10TensorInfoIT_T1_EESF_NSC_IKS6_SE_EElS8_S8_SE_T6_,"axG",@progbits,_ZN2at4cuda17kernelHistogram1DIdslLi1ELi2ELin1ELNS0_23CUDAHistogramMemoryTypeE1EZNS0_21CUDA_tensor_histogramIdsLb1EEEbNS_6TensorES4_S4_lNS_14AccumulateTypeIT0_Lb1EE4typeES8_NS0_13TensorArgTypeES9_S9_EUllE_EEvNS0_6detail10TensorInfoIT_T1_EESF_NSC_IKS6_SE_EElS8_S8_SE_T6_,comdat
	.protected	_ZN2at4cuda17kernelHistogram1DIdslLi1ELi2ELin1ELNS0_23CUDAHistogramMemoryTypeE1EZNS0_21CUDA_tensor_histogramIdsLb1EEEbNS_6TensorES4_S4_lNS_14AccumulateTypeIT0_Lb1EE4typeES8_NS0_13TensorArgTypeES9_S9_EUllE_EEvNS0_6detail10TensorInfoIT_T1_EESF_NSC_IKS6_SE_EElS8_S8_SE_T6_ ; -- Begin function _ZN2at4cuda17kernelHistogram1DIdslLi1ELi2ELin1ELNS0_23CUDAHistogramMemoryTypeE1EZNS0_21CUDA_tensor_histogramIdsLb1EEEbNS_6TensorES4_S4_lNS_14AccumulateTypeIT0_Lb1EE4typeES8_NS0_13TensorArgTypeES9_S9_EUllE_EEvNS0_6detail10TensorInfoIT_T1_EESF_NSC_IKS6_SE_EElS8_S8_SE_T6_
	.globl	_ZN2at4cuda17kernelHistogram1DIdslLi1ELi2ELin1ELNS0_23CUDAHistogramMemoryTypeE1EZNS0_21CUDA_tensor_histogramIdsLb1EEEbNS_6TensorES4_S4_lNS_14AccumulateTypeIT0_Lb1EE4typeES8_NS0_13TensorArgTypeES9_S9_EUllE_EEvNS0_6detail10TensorInfoIT_T1_EESF_NSC_IKS6_SE_EElS8_S8_SE_T6_
	.p2align	8
	.type	_ZN2at4cuda17kernelHistogram1DIdslLi1ELi2ELin1ELNS0_23CUDAHistogramMemoryTypeE1EZNS0_21CUDA_tensor_histogramIdsLb1EEEbNS_6TensorES4_S4_lNS_14AccumulateTypeIT0_Lb1EE4typeES8_NS0_13TensorArgTypeES9_S9_EUllE_EEvNS0_6detail10TensorInfoIT_T1_EESF_NSC_IKS6_SE_EElS8_S8_SE_T6_,@function
_ZN2at4cuda17kernelHistogram1DIdslLi1ELi2ELin1ELNS0_23CUDAHistogramMemoryTypeE1EZNS0_21CUDA_tensor_histogramIdsLb1EEEbNS_6TensorES4_S4_lNS_14AccumulateTypeIT0_Lb1EE4typeES8_NS0_13TensorArgTypeES9_S9_EUllE_EEvNS0_6detail10TensorInfoIT_T1_EESF_NSC_IKS6_SE_EElS8_S8_SE_T6_: ; @_ZN2at4cuda17kernelHistogram1DIdslLi1ELi2ELin1ELNS0_23CUDAHistogramMemoryTypeE1EZNS0_21CUDA_tensor_histogramIdsLb1EEEbNS_6TensorES4_S4_lNS_14AccumulateTypeIT0_Lb1EE4typeES8_NS0_13TensorArgTypeES9_S9_EUllE_EEvNS0_6detail10TensorInfoIT_T1_EESF_NSC_IKS6_SE_EElS8_S8_SE_T6_
; %bb.0:
	s_load_dword s2, s[4:5], 0x6ac
	s_load_dwordx8 s[8:15], s[4:5], 0x4e0
	s_add_u32 s0, s4, 0x6a0
	s_addc_u32 s1, s5, 0
	v_mov_b32_e32 v2, 0
	s_waitcnt lgkmcnt(0)
	s_and_b32 s2, s2, 0xffff
	s_mul_i32 s6, s6, s2
	v_add_u32_e32 v0, s6, v0
	v_mov_b32_e32 v1, v2
	v_cmp_gt_i64_e32 vcc, s[14:15], v[0:1]
	s_and_saveexec_b64 s[6:7], vcc
	s_cbranch_execz .LBB57_16
; %bb.1:
	s_load_dwordx2 s[6:7], s[4:5], 0x5d0
	s_load_dwordx2 s[16:17], s[4:5], 0x500
	s_load_dword s3, s[4:5], 0x4d8
	s_load_dwordx2 s[18:19], s[4:5], 0x0
	s_load_dwordx2 s[20:21], s[4:5], 0xd0
	s_load_dword s28, s[0:1], 0x0
	s_add_u32 s26, s4, 0x340
	s_addc_u32 s27, s5, 0
	s_mov_b32 s42, 0
	s_waitcnt lgkmcnt(0)
	s_cmp_gt_i32 s3, 1
	s_cselect_b64 s[0:1], -1, 0
	s_sub_u32 s33, s12, s10
	s_subb_u32 s40, s13, s11
	s_mul_i32 s41, s28, s2
	s_add_i32 s43, s3, 1
	s_add_i32 s2, s3, -1
	s_mov_b32 s3, s42
	s_load_dwordx2 s[22:23], s[4:5], 0x410
	s_load_dwordx2 s[24:25], s[4:5], 0x340
	s_lshl_b64 s[2:3], s[2:3], 3
	s_add_u32 s2, s2, s26
	s_addc_u32 s3, s3, s27
	s_add_u32 s4, s2, 8
	v_cndmask_b32_e64 v3, 0, 1, s[0:1]
	s_addc_u32 s5, s3, 0
	s_mov_b64 s[26:27], 0
	v_cmp_ne_u32_e64 s[0:1], 1, v3
	s_branch .LBB57_4
.LBB57_2:                               ;   in Loop: Header=BB57_4 Depth=1
	s_or_b64 exec, exec, s[2:3]
	v_mul_lo_u32 v3, v1, s6
	v_mul_lo_u32 v7, v0, s7
	v_mad_u64_u32 v[4:5], s[2:3], v0, s6, 0
	v_add3_u32 v5, v5, v7, v3
	v_lshlrev_b64 v[4:5], 3, v[4:5]
	v_mov_b32_e32 v3, s17
	v_add_co_u32_e32 v4, vcc, s16, v4
	v_addc_co_u32_e32 v5, vcc, v3, v5, vcc
	global_load_dwordx2 v[4:5], v[4:5], off
	v_ashrrev_i32_e32 v7, 31, v6
	v_cmp_eq_u64_e32 vcc, s[8:9], v[6:7]
	v_cndmask_b32_e64 v3, 0, 1, vcc
	v_sub_co_u32_e32 v3, vcc, v6, v3
	v_subbrev_co_u32_e32 v6, vcc, 0, v7, vcc
	v_mul_lo_u32 v8, v6, s20
	v_mul_lo_u32 v9, v3, s21
	v_mad_u64_u32 v[6:7], s[2:3], v3, s20, 0
	v_add3_u32 v7, v7, v9, v8
	v_lshlrev_b64 v[6:7], 3, v[6:7]
	v_mov_b32_e32 v3, s19
	v_add_co_u32_e32 v6, vcc, s18, v6
	v_addc_co_u32_e32 v7, vcc, v3, v7, vcc
	s_waitcnt vmcnt(0)
	global_atomic_add_f64 v[6:7], v[4:5], off
.LBB57_3:                               ;   in Loop: Header=BB57_4 Depth=1
	s_or_b64 exec, exec, s[28:29]
	v_mov_b32_e32 v3, s42
	v_add_co_u32_e32 v0, vcc, s41, v0
	v_addc_co_u32_e32 v1, vcc, v1, v3, vcc
	v_cmp_le_i64_e32 vcc, s[14:15], v[0:1]
	s_or_b64 s[26:27], vcc, s[26:27]
	s_andn2_b64 exec, exec, s[26:27]
	s_cbranch_execz .LBB57_16
.LBB57_4:                               ; =>This Loop Header: Depth=1
                                        ;     Child Loop BB57_5 Depth 2
	s_and_b64 vcc, exec, s[0:1]
	v_pk_mov_b32 v[4:5], 0, 0
	s_mov_b64 s[28:29], s[4:5]
	s_mov_b32 s44, s43
	v_pk_mov_b32 v[6:7], v[0:1], v[0:1] op_sel:[0,1]
	v_pk_mov_b32 v[8:9], v[0:1], v[0:1] op_sel:[0,1]
	s_cbranch_vccnz .LBB57_11
.LBB57_5:                               ;   Parent Loop BB57_4 Depth=1
                                        ; =>  This Inner Loop Header: Depth=2
	s_load_dwordx2 s[30:31], s[28:29], 0x0
                                        ; implicit-def: $vgpr8_vgpr9
	s_waitcnt lgkmcnt(0)
	v_or_b32_e32 v3, s31, v7
	v_cmp_ne_u64_e32 vcc, 0, v[2:3]
	s_and_saveexec_b64 s[2:3], vcc
	s_xor_b64 s[34:35], exec, s[2:3]
	s_cbranch_execz .LBB57_7
; %bb.6:                                ;   in Loop: Header=BB57_5 Depth=2
	s_ashr_i32 s36, s31, 31
	s_add_u32 s2, s30, s36
	s_mov_b32 s37, s36
	s_addc_u32 s3, s31, s36
	s_xor_b64 s[38:39], s[2:3], s[36:37]
	v_cvt_f32_u32_e32 v3, s38
	v_cvt_f32_u32_e32 v8, s39
	s_sub_u32 s2, 0, s38
	s_subb_u32 s3, 0, s39
	v_mac_f32_e32 v3, 0x4f800000, v8
	v_rcp_f32_e32 v3, v3
	v_mul_f32_e32 v3, 0x5f7ffffc, v3
	v_mul_f32_e32 v8, 0x2f800000, v3
	v_trunc_f32_e32 v8, v8
	v_mac_f32_e32 v3, 0xcf800000, v8
	v_cvt_u32_f32_e32 v8, v8
	v_cvt_u32_f32_e32 v3, v3
	v_mul_lo_u32 v9, s2, v8
	v_mul_hi_u32 v11, s2, v3
	v_mul_lo_u32 v10, s3, v3
	v_add_u32_e32 v9, v11, v9
	v_mul_lo_u32 v12, s2, v3
	v_add_u32_e32 v9, v9, v10
	v_mul_lo_u32 v11, v3, v9
	v_mul_hi_u32 v13, v3, v12
	v_mul_hi_u32 v10, v3, v9
	v_add_co_u32_e32 v11, vcc, v13, v11
	v_addc_co_u32_e32 v10, vcc, 0, v10, vcc
	v_mul_hi_u32 v14, v8, v12
	v_mul_lo_u32 v12, v8, v12
	v_add_co_u32_e32 v11, vcc, v11, v12
	v_mul_hi_u32 v13, v8, v9
	v_addc_co_u32_e32 v10, vcc, v10, v14, vcc
	v_addc_co_u32_e32 v11, vcc, 0, v13, vcc
	v_mul_lo_u32 v9, v8, v9
	v_add_co_u32_e32 v9, vcc, v10, v9
	v_addc_co_u32_e32 v10, vcc, 0, v11, vcc
	v_add_co_u32_e32 v3, vcc, v3, v9
	v_addc_co_u32_e32 v8, vcc, v8, v10, vcc
	v_mul_lo_u32 v9, s2, v8
	v_mul_hi_u32 v10, s2, v3
	v_add_u32_e32 v9, v10, v9
	v_mul_lo_u32 v10, s3, v3
	v_add_u32_e32 v9, v9, v10
	v_mul_lo_u32 v11, s2, v3
	v_mul_hi_u32 v12, v8, v11
	v_mul_lo_u32 v13, v8, v11
	v_mul_lo_u32 v15, v3, v9
	v_mul_hi_u32 v11, v3, v11
	v_mul_hi_u32 v14, v3, v9
	v_add_co_u32_e32 v11, vcc, v11, v15
	v_addc_co_u32_e32 v14, vcc, 0, v14, vcc
	v_add_co_u32_e32 v11, vcc, v11, v13
	v_mul_hi_u32 v10, v8, v9
	v_addc_co_u32_e32 v11, vcc, v14, v12, vcc
	v_addc_co_u32_e32 v10, vcc, 0, v10, vcc
	v_mul_lo_u32 v9, v8, v9
	v_add_co_u32_e32 v9, vcc, v11, v9
	v_addc_co_u32_e32 v10, vcc, 0, v10, vcc
	v_add_co_u32_e32 v3, vcc, v3, v9
	v_addc_co_u32_e32 v10, vcc, v8, v10, vcc
	v_ashrrev_i32_e32 v12, 31, v7
	v_add_co_u32_e32 v8, vcc, v6, v12
	v_addc_co_u32_e32 v9, vcc, v7, v12, vcc
	v_xor_b32_e32 v14, v8, v12
	v_xor_b32_e32 v13, v9, v12
	v_mad_u64_u32 v[8:9], s[2:3], v14, v10, 0
	v_mul_hi_u32 v11, v14, v3
	v_add_co_u32_e32 v15, vcc, v11, v8
	v_addc_co_u32_e32 v16, vcc, 0, v9, vcc
	v_mad_u64_u32 v[8:9], s[2:3], v13, v10, 0
	v_mad_u64_u32 v[10:11], s[2:3], v13, v3, 0
	v_add_co_u32_e32 v3, vcc, v15, v10
	v_addc_co_u32_e32 v3, vcc, v16, v11, vcc
	v_addc_co_u32_e32 v9, vcc, 0, v9, vcc
	v_add_co_u32_e32 v3, vcc, v3, v8
	v_addc_co_u32_e32 v10, vcc, 0, v9, vcc
	v_mul_lo_u32 v11, s39, v3
	v_mul_lo_u32 v15, s38, v10
	v_mad_u64_u32 v[8:9], s[2:3], s38, v3, 0
	v_add3_u32 v9, v9, v15, v11
	v_sub_u32_e32 v11, v13, v9
	v_mov_b32_e32 v15, s39
	v_sub_co_u32_e32 v8, vcc, v14, v8
	v_subb_co_u32_e64 v11, s[2:3], v11, v15, vcc
	v_subrev_co_u32_e64 v14, s[2:3], s38, v8
	v_subbrev_co_u32_e64 v11, s[2:3], 0, v11, s[2:3]
	v_cmp_le_u32_e64 s[2:3], s39, v11
	v_cndmask_b32_e64 v15, 0, -1, s[2:3]
	v_cmp_le_u32_e64 s[2:3], s38, v14
	v_cndmask_b32_e64 v14, 0, -1, s[2:3]
	v_cmp_eq_u32_e64 s[2:3], s39, v11
	v_cndmask_b32_e64 v11, v15, v14, s[2:3]
	v_add_co_u32_e64 v14, s[2:3], 2, v3
	v_subb_co_u32_e32 v9, vcc, v13, v9, vcc
	v_addc_co_u32_e64 v15, s[2:3], 0, v10, s[2:3]
	v_cmp_le_u32_e32 vcc, s39, v9
	v_add_co_u32_e64 v16, s[2:3], 1, v3
	v_cndmask_b32_e64 v13, 0, -1, vcc
	v_cmp_le_u32_e32 vcc, s38, v8
	v_addc_co_u32_e64 v17, s[2:3], 0, v10, s[2:3]
	v_cndmask_b32_e64 v8, 0, -1, vcc
	v_cmp_eq_u32_e32 vcc, s39, v9
	v_cmp_ne_u32_e64 s[2:3], 0, v11
	v_cndmask_b32_e32 v8, v13, v8, vcc
	v_cmp_ne_u32_e32 vcc, 0, v8
	v_cndmask_b32_e64 v9, v16, v14, s[2:3]
	v_cndmask_b32_e64 v11, v17, v15, s[2:3]
	v_cndmask_b32_e32 v3, v3, v9, vcc
	v_xor_b32_e32 v9, s36, v12
	v_cndmask_b32_e32 v8, v10, v11, vcc
	v_xor_b32_e32 v3, v3, v9
	v_xor_b32_e32 v10, v8, v9
	v_sub_co_u32_e32 v8, vcc, v3, v9
	v_subb_co_u32_e32 v9, vcc, v10, v9, vcc
.LBB57_7:                               ;   in Loop: Header=BB57_5 Depth=2
	s_andn2_saveexec_b64 s[2:3], s[34:35]
	s_cbranch_execz .LBB57_9
; %bb.8:                                ;   in Loop: Header=BB57_5 Depth=2
	v_cvt_f32_u32_e32 v3, s30
	s_sub_i32 s34, 0, s30
	v_rcp_iflag_f32_e32 v3, v3
	v_mul_f32_e32 v3, 0x4f7ffffe, v3
	v_cvt_u32_f32_e32 v3, v3
	v_mul_lo_u32 v8, s34, v3
	v_mul_hi_u32 v8, v3, v8
	v_add_u32_e32 v3, v3, v8
	v_mul_hi_u32 v3, v6, v3
	v_mul_lo_u32 v8, v3, s30
	v_sub_u32_e32 v8, v6, v8
	v_add_u32_e32 v9, 1, v3
	v_subrev_u32_e32 v10, s30, v8
	v_cmp_le_u32_e32 vcc, s30, v8
	v_cndmask_b32_e32 v8, v8, v10, vcc
	v_cndmask_b32_e32 v3, v3, v9, vcc
	v_add_u32_e32 v9, 1, v3
	v_cmp_le_u32_e32 vcc, s30, v8
	v_cndmask_b32_e32 v8, v3, v9, vcc
	v_mov_b32_e32 v9, v2
.LBB57_9:                               ;   in Loop: Header=BB57_5 Depth=2
	s_or_b64 exec, exec, s[2:3]
	v_mad_u64_u32 v[10:11], s[2:3], v8, s30, 0
	s_load_dwordx2 s[2:3], s[28:29], 0xc8
	v_mul_lo_u32 v3, v9, s30
	v_mul_lo_u32 v12, v8, s31
	v_add3_u32 v3, v11, v12, v3
	v_sub_co_u32_e32 v6, vcc, v6, v10
	s_add_i32 s44, s44, -1
	v_subb_co_u32_e32 v3, vcc, v7, v3, vcc
	s_add_u32 s28, s28, -8
	s_waitcnt lgkmcnt(0)
	v_mul_lo_u32 v3, s2, v3
	v_mul_lo_u32 v7, s3, v6
	v_mad_u64_u32 v[4:5], s[2:3], s2, v6, v[4:5]
	s_addc_u32 s29, s29, -1
	s_cmp_gt_u32 s44, 2
	v_add3_u32 v5, v7, v5, v3
	s_cbranch_scc0 .LBB57_11
; %bb.10:                               ;   in Loop: Header=BB57_5 Depth=2
	v_pk_mov_b32 v[6:7], v[8:9], v[8:9] op_sel:[0,1]
	s_branch .LBB57_5
.LBB57_11:                              ;   in Loop: Header=BB57_4 Depth=1
	s_waitcnt lgkmcnt(0)
	v_mul_lo_u32 v3, s23, v8
	v_mul_lo_u32 v9, s22, v9
	v_mad_u64_u32 v[6:7], s[2:3], s22, v8, 0
	v_add3_u32 v7, v7, v9, v3
	v_lshlrev_b64 v[6:7], 1, v[6:7]
	v_mov_b32_e32 v3, s25
	v_add_co_u32_e32 v6, vcc, s24, v6
	v_addc_co_u32_e32 v3, vcc, v3, v7, vcc
	v_lshlrev_b64 v[4:5], 1, v[4:5]
	v_add_co_u32_e32 v4, vcc, v6, v4
	v_addc_co_u32_e32 v5, vcc, v3, v5, vcc
	global_load_ushort v3, v[4:5], off
	s_waitcnt vmcnt(0)
	v_bfe_i32 v4, v3, 0, 16
	v_ashrrev_i32_e32 v5, 31, v4
	v_cmp_le_i64_e32 vcc, s[10:11], v[4:5]
	v_cmp_ge_i64_e64 s[2:3], s[12:13], v[4:5]
	s_and_b64 s[2:3], vcc, s[2:3]
	s_and_saveexec_b64 s[28:29], s[2:3]
	s_cbranch_execz .LBB57_3
; %bb.12:                               ;   in Loop: Header=BB57_4 Depth=1
	v_mov_b32_e32 v3, s11
	v_subrev_co_u32_e32 v4, vcc, s10, v4
	v_subb_co_u32_e32 v3, vcc, v5, v3, vcc
	v_mul_lo_u32 v3, v3, s8
	v_mul_lo_u32 v6, v4, s9
	v_mad_u64_u32 v[4:5], s[2:3], v4, s8, 0
	v_add3_u32 v5, v5, v6, v3
	v_or_b32_e32 v3, s40, v5
	v_cmp_ne_u64_e32 vcc, 0, v[2:3]
                                        ; implicit-def: $vgpr6_vgpr7
	s_and_saveexec_b64 s[2:3], vcc
	s_xor_b64 s[30:31], exec, s[2:3]
	s_cbranch_execz .LBB57_14
; %bb.13:                               ;   in Loop: Header=BB57_4 Depth=1
	s_ashr_i32 s34, s40, 31
	s_add_u32 s2, s33, s34
	s_mov_b32 s35, s34
	s_addc_u32 s3, s40, s34
	s_xor_b64 s[36:37], s[2:3], s[34:35]
	v_cvt_f32_u32_e32 v3, s36
	v_cvt_f32_u32_e32 v6, s37
	s_sub_u32 s2, 0, s36
	s_subb_u32 s3, 0, s37
	v_mac_f32_e32 v3, 0x4f800000, v6
	v_rcp_f32_e32 v3, v3
	v_mul_f32_e32 v3, 0x5f7ffffc, v3
	v_mul_f32_e32 v6, 0x2f800000, v3
	v_trunc_f32_e32 v6, v6
	v_mac_f32_e32 v3, 0xcf800000, v6
	v_cvt_u32_f32_e32 v6, v6
	v_cvt_u32_f32_e32 v3, v3
	v_mul_lo_u32 v7, s2, v6
	v_mul_hi_u32 v9, s2, v3
	v_mul_lo_u32 v8, s3, v3
	v_add_u32_e32 v7, v9, v7
	v_mul_lo_u32 v10, s2, v3
	v_add_u32_e32 v7, v7, v8
	v_mul_lo_u32 v9, v3, v7
	v_mul_hi_u32 v11, v3, v10
	v_mul_hi_u32 v8, v3, v7
	v_add_co_u32_e32 v9, vcc, v11, v9
	v_addc_co_u32_e32 v8, vcc, 0, v8, vcc
	v_mul_hi_u32 v12, v6, v10
	v_mul_lo_u32 v10, v6, v10
	v_add_co_u32_e32 v9, vcc, v9, v10
	v_mul_hi_u32 v11, v6, v7
	v_addc_co_u32_e32 v8, vcc, v8, v12, vcc
	v_addc_co_u32_e32 v9, vcc, 0, v11, vcc
	v_mul_lo_u32 v7, v6, v7
	v_add_co_u32_e32 v7, vcc, v8, v7
	v_addc_co_u32_e32 v8, vcc, 0, v9, vcc
	v_add_co_u32_e32 v3, vcc, v3, v7
	v_addc_co_u32_e32 v6, vcc, v6, v8, vcc
	v_mul_lo_u32 v7, s2, v6
	v_mul_hi_u32 v8, s2, v3
	v_add_u32_e32 v7, v8, v7
	v_mul_lo_u32 v8, s3, v3
	v_add_u32_e32 v7, v7, v8
	v_mul_lo_u32 v9, s2, v3
	v_mul_hi_u32 v10, v6, v9
	v_mul_lo_u32 v11, v6, v9
	v_mul_lo_u32 v13, v3, v7
	v_mul_hi_u32 v9, v3, v9
	v_mul_hi_u32 v12, v3, v7
	v_add_co_u32_e32 v9, vcc, v9, v13
	v_addc_co_u32_e32 v12, vcc, 0, v12, vcc
	v_add_co_u32_e32 v9, vcc, v9, v11
	v_mul_hi_u32 v8, v6, v7
	v_addc_co_u32_e32 v9, vcc, v12, v10, vcc
	v_addc_co_u32_e32 v8, vcc, 0, v8, vcc
	v_mul_lo_u32 v7, v6, v7
	v_add_co_u32_e32 v7, vcc, v9, v7
	v_addc_co_u32_e32 v8, vcc, 0, v8, vcc
	v_add_co_u32_e32 v3, vcc, v3, v7
	v_addc_co_u32_e32 v6, vcc, v6, v8, vcc
	v_ashrrev_i32_e32 v8, 31, v5
	v_add_co_u32_e32 v4, vcc, v4, v8
	v_addc_co_u32_e32 v5, vcc, v5, v8, vcc
	v_xor_b32_e32 v10, v4, v8
	v_xor_b32_e32 v9, v5, v8
	v_mad_u64_u32 v[4:5], s[2:3], v10, v6, 0
	v_mul_hi_u32 v7, v10, v3
	v_add_co_u32_e32 v11, vcc, v7, v4
	v_addc_co_u32_e32 v12, vcc, 0, v5, vcc
	v_mad_u64_u32 v[4:5], s[2:3], v9, v6, 0
	v_mad_u64_u32 v[6:7], s[2:3], v9, v3, 0
	v_add_co_u32_e32 v3, vcc, v11, v6
	v_addc_co_u32_e32 v3, vcc, v12, v7, vcc
	v_addc_co_u32_e32 v5, vcc, 0, v5, vcc
	v_add_co_u32_e32 v3, vcc, v3, v4
	v_addc_co_u32_e32 v4, vcc, 0, v5, vcc
	v_mul_lo_u32 v6, s37, v3
	v_mul_lo_u32 v7, s36, v4
	v_mad_u64_u32 v[4:5], s[2:3], s36, v3, 0
	v_add3_u32 v5, v5, v7, v6
	v_sub_u32_e32 v6, v9, v5
	v_mov_b32_e32 v7, s37
	v_sub_co_u32_e32 v4, vcc, v10, v4
	v_subb_co_u32_e64 v6, s[2:3], v6, v7, vcc
	v_subrev_co_u32_e64 v7, s[2:3], s36, v4
	v_subbrev_co_u32_e64 v6, s[2:3], 0, v6, s[2:3]
	v_cmp_le_u32_e64 s[2:3], s37, v6
	v_subb_co_u32_e32 v5, vcc, v9, v5, vcc
	v_cndmask_b32_e64 v10, 0, -1, s[2:3]
	v_cmp_le_u32_e64 s[2:3], s36, v7
	v_cmp_le_u32_e32 vcc, s37, v5
	v_cndmask_b32_e64 v7, 0, -1, s[2:3]
	v_cmp_eq_u32_e64 s[2:3], s37, v6
	v_cndmask_b32_e64 v9, 0, -1, vcc
	v_cmp_le_u32_e32 vcc, s36, v4
	v_cndmask_b32_e64 v6, v10, v7, s[2:3]
	v_cndmask_b32_e64 v4, 0, -1, vcc
	v_cmp_eq_u32_e32 vcc, s37, v5
	v_add_co_u32_e64 v7, s[2:3], 2, v3
	v_add_co_u32_e64 v10, s[2:3], 1, v3
	v_cndmask_b32_e32 v4, v9, v4, vcc
	v_cmp_ne_u32_e32 vcc, 0, v6
	v_cndmask_b32_e32 v5, v10, v7, vcc
	v_cmp_ne_u32_e32 vcc, 0, v4
	v_cndmask_b32_e32 v3, v3, v5, vcc
	v_xor_b32_e32 v4, s34, v8
	v_xor_b32_e32 v3, v3, v4
	v_sub_co_u32_e32 v6, vcc, v3, v4
                                        ; implicit-def: $vgpr4_vgpr5
.LBB57_14:                              ;   in Loop: Header=BB57_4 Depth=1
	s_andn2_saveexec_b64 s[2:3], s[30:31]
	s_cbranch_execz .LBB57_2
; %bb.15:                               ;   in Loop: Header=BB57_4 Depth=1
	v_cvt_f32_u32_e32 v3, s33
	s_sub_i32 s30, 0, s33
	v_rcp_iflag_f32_e32 v3, v3
	v_mul_f32_e32 v3, 0x4f7ffffe, v3
	v_cvt_u32_f32_e32 v3, v3
	v_mul_lo_u32 v5, s30, v3
	v_mul_hi_u32 v5, v3, v5
	v_add_u32_e32 v3, v3, v5
	v_mul_hi_u32 v3, v4, v3
	v_mul_lo_u32 v5, v3, s33
	v_sub_u32_e32 v4, v4, v5
	v_add_u32_e32 v6, 1, v3
	v_subrev_u32_e32 v5, s33, v4
	v_cmp_le_u32_e32 vcc, s33, v4
	v_cndmask_b32_e32 v4, v4, v5, vcc
	v_cndmask_b32_e32 v3, v3, v6, vcc
	v_add_u32_e32 v5, 1, v3
	v_cmp_le_u32_e32 vcc, s33, v4
	v_cndmask_b32_e32 v6, v3, v5, vcc
	s_branch .LBB57_2
.LBB57_16:
	s_endpgm
	.section	.rodata,"a",@progbits
	.p2align	6, 0x0
	.amdhsa_kernel _ZN2at4cuda17kernelHistogram1DIdslLi1ELi2ELin1ELNS0_23CUDAHistogramMemoryTypeE1EZNS0_21CUDA_tensor_histogramIdsLb1EEEbNS_6TensorES4_S4_lNS_14AccumulateTypeIT0_Lb1EE4typeES8_NS0_13TensorArgTypeES9_S9_EUllE_EEvNS0_6detail10TensorInfoIT_T1_EESF_NSC_IKS6_SE_EElS8_S8_SE_T6_
		.amdhsa_group_segment_fixed_size 0
		.amdhsa_private_segment_fixed_size 0
		.amdhsa_kernarg_size 1952
		.amdhsa_user_sgpr_count 6
		.amdhsa_user_sgpr_private_segment_buffer 1
		.amdhsa_user_sgpr_dispatch_ptr 0
		.amdhsa_user_sgpr_queue_ptr 0
		.amdhsa_user_sgpr_kernarg_segment_ptr 1
		.amdhsa_user_sgpr_dispatch_id 0
		.amdhsa_user_sgpr_flat_scratch_init 0
		.amdhsa_user_sgpr_kernarg_preload_length 0
		.amdhsa_user_sgpr_kernarg_preload_offset 0
		.amdhsa_user_sgpr_private_segment_size 0
		.amdhsa_uses_dynamic_stack 0
		.amdhsa_system_sgpr_private_segment_wavefront_offset 0
		.amdhsa_system_sgpr_workgroup_id_x 1
		.amdhsa_system_sgpr_workgroup_id_y 0
		.amdhsa_system_sgpr_workgroup_id_z 0
		.amdhsa_system_sgpr_workgroup_info 0
		.amdhsa_system_vgpr_workitem_id 0
		.amdhsa_next_free_vgpr 18
		.amdhsa_next_free_sgpr 45
		.amdhsa_accum_offset 20
		.amdhsa_reserve_vcc 1
		.amdhsa_reserve_flat_scratch 0
		.amdhsa_float_round_mode_32 0
		.amdhsa_float_round_mode_16_64 0
		.amdhsa_float_denorm_mode_32 3
		.amdhsa_float_denorm_mode_16_64 3
		.amdhsa_dx10_clamp 1
		.amdhsa_ieee_mode 1
		.amdhsa_fp16_overflow 0
		.amdhsa_tg_split 0
		.amdhsa_exception_fp_ieee_invalid_op 0
		.amdhsa_exception_fp_denorm_src 0
		.amdhsa_exception_fp_ieee_div_zero 0
		.amdhsa_exception_fp_ieee_overflow 0
		.amdhsa_exception_fp_ieee_underflow 0
		.amdhsa_exception_fp_ieee_inexact 0
		.amdhsa_exception_int_div_zero 0
	.end_amdhsa_kernel
	.section	.text._ZN2at4cuda17kernelHistogram1DIdslLi1ELi2ELin1ELNS0_23CUDAHistogramMemoryTypeE1EZNS0_21CUDA_tensor_histogramIdsLb1EEEbNS_6TensorES4_S4_lNS_14AccumulateTypeIT0_Lb1EE4typeES8_NS0_13TensorArgTypeES9_S9_EUllE_EEvNS0_6detail10TensorInfoIT_T1_EESF_NSC_IKS6_SE_EElS8_S8_SE_T6_,"axG",@progbits,_ZN2at4cuda17kernelHistogram1DIdslLi1ELi2ELin1ELNS0_23CUDAHistogramMemoryTypeE1EZNS0_21CUDA_tensor_histogramIdsLb1EEEbNS_6TensorES4_S4_lNS_14AccumulateTypeIT0_Lb1EE4typeES8_NS0_13TensorArgTypeES9_S9_EUllE_EEvNS0_6detail10TensorInfoIT_T1_EESF_NSC_IKS6_SE_EElS8_S8_SE_T6_,comdat
.Lfunc_end57:
	.size	_ZN2at4cuda17kernelHistogram1DIdslLi1ELi2ELin1ELNS0_23CUDAHistogramMemoryTypeE1EZNS0_21CUDA_tensor_histogramIdsLb1EEEbNS_6TensorES4_S4_lNS_14AccumulateTypeIT0_Lb1EE4typeES8_NS0_13TensorArgTypeES9_S9_EUllE_EEvNS0_6detail10TensorInfoIT_T1_EESF_NSC_IKS6_SE_EElS8_S8_SE_T6_, .Lfunc_end57-_ZN2at4cuda17kernelHistogram1DIdslLi1ELi2ELin1ELNS0_23CUDAHistogramMemoryTypeE1EZNS0_21CUDA_tensor_histogramIdsLb1EEEbNS_6TensorES4_S4_lNS_14AccumulateTypeIT0_Lb1EE4typeES8_NS0_13TensorArgTypeES9_S9_EUllE_EEvNS0_6detail10TensorInfoIT_T1_EESF_NSC_IKS6_SE_EElS8_S8_SE_T6_
                                        ; -- End function
	.section	.AMDGPU.csdata,"",@progbits
; Kernel info:
; codeLenInByte = 2300
; NumSgprs: 49
; NumVgprs: 18
; NumAgprs: 0
; TotalNumVgprs: 18
; ScratchSize: 0
; MemoryBound: 0
; FloatMode: 240
; IeeeMode: 1
; LDSByteSize: 0 bytes/workgroup (compile time only)
; SGPRBlocks: 6
; VGPRBlocks: 2
; NumSGPRsForWavesPerEU: 49
; NumVGPRsForWavesPerEU: 18
; AccumOffset: 20
; Occupancy: 8
; WaveLimiterHint : 1
; COMPUTE_PGM_RSRC2:SCRATCH_EN: 0
; COMPUTE_PGM_RSRC2:USER_SGPR: 6
; COMPUTE_PGM_RSRC2:TRAP_HANDLER: 0
; COMPUTE_PGM_RSRC2:TGID_X_EN: 1
; COMPUTE_PGM_RSRC2:TGID_Y_EN: 0
; COMPUTE_PGM_RSRC2:TGID_Z_EN: 0
; COMPUTE_PGM_RSRC2:TIDIG_COMP_CNT: 0
; COMPUTE_PGM_RSRC3_GFX90A:ACCUM_OFFSET: 4
; COMPUTE_PGM_RSRC3_GFX90A:TG_SPLIT: 0
	.section	.text._ZN2at4cuda17kernelHistogram1DIdslLi1ELi2ELin1ELNS0_23CUDAHistogramMemoryTypeE0EZNS0_21CUDA_tensor_histogramIdsLb1EEEbNS_6TensorES4_S4_lNS_14AccumulateTypeIT0_Lb1EE4typeES8_NS0_13TensorArgTypeES9_S9_EUllE0_EEvNS0_6detail10TensorInfoIT_T1_EESF_NSC_IKS6_SE_EElS8_S8_SE_T6_,"axG",@progbits,_ZN2at4cuda17kernelHistogram1DIdslLi1ELi2ELin1ELNS0_23CUDAHistogramMemoryTypeE0EZNS0_21CUDA_tensor_histogramIdsLb1EEEbNS_6TensorES4_S4_lNS_14AccumulateTypeIT0_Lb1EE4typeES8_NS0_13TensorArgTypeES9_S9_EUllE0_EEvNS0_6detail10TensorInfoIT_T1_EESF_NSC_IKS6_SE_EElS8_S8_SE_T6_,comdat
	.protected	_ZN2at4cuda17kernelHistogram1DIdslLi1ELi2ELin1ELNS0_23CUDAHistogramMemoryTypeE0EZNS0_21CUDA_tensor_histogramIdsLb1EEEbNS_6TensorES4_S4_lNS_14AccumulateTypeIT0_Lb1EE4typeES8_NS0_13TensorArgTypeES9_S9_EUllE0_EEvNS0_6detail10TensorInfoIT_T1_EESF_NSC_IKS6_SE_EElS8_S8_SE_T6_ ; -- Begin function _ZN2at4cuda17kernelHistogram1DIdslLi1ELi2ELin1ELNS0_23CUDAHistogramMemoryTypeE0EZNS0_21CUDA_tensor_histogramIdsLb1EEEbNS_6TensorES4_S4_lNS_14AccumulateTypeIT0_Lb1EE4typeES8_NS0_13TensorArgTypeES9_S9_EUllE0_EEvNS0_6detail10TensorInfoIT_T1_EESF_NSC_IKS6_SE_EElS8_S8_SE_T6_
	.globl	_ZN2at4cuda17kernelHistogram1DIdslLi1ELi2ELin1ELNS0_23CUDAHistogramMemoryTypeE0EZNS0_21CUDA_tensor_histogramIdsLb1EEEbNS_6TensorES4_S4_lNS_14AccumulateTypeIT0_Lb1EE4typeES8_NS0_13TensorArgTypeES9_S9_EUllE0_EEvNS0_6detail10TensorInfoIT_T1_EESF_NSC_IKS6_SE_EElS8_S8_SE_T6_
	.p2align	8
	.type	_ZN2at4cuda17kernelHistogram1DIdslLi1ELi2ELin1ELNS0_23CUDAHistogramMemoryTypeE0EZNS0_21CUDA_tensor_histogramIdsLb1EEEbNS_6TensorES4_S4_lNS_14AccumulateTypeIT0_Lb1EE4typeES8_NS0_13TensorArgTypeES9_S9_EUllE0_EEvNS0_6detail10TensorInfoIT_T1_EESF_NSC_IKS6_SE_EElS8_S8_SE_T6_,@function
_ZN2at4cuda17kernelHistogram1DIdslLi1ELi2ELin1ELNS0_23CUDAHistogramMemoryTypeE0EZNS0_21CUDA_tensor_histogramIdsLb1EEEbNS_6TensorES4_S4_lNS_14AccumulateTypeIT0_Lb1EE4typeES8_NS0_13TensorArgTypeES9_S9_EUllE0_EEvNS0_6detail10TensorInfoIT_T1_EESF_NSC_IKS6_SE_EElS8_S8_SE_T6_: ; @_ZN2at4cuda17kernelHistogram1DIdslLi1ELi2ELin1ELNS0_23CUDAHistogramMemoryTypeE0EZNS0_21CUDA_tensor_histogramIdsLb1EEEbNS_6TensorES4_S4_lNS_14AccumulateTypeIT0_Lb1EE4typeES8_NS0_13TensorArgTypeES9_S9_EUllE0_EEvNS0_6detail10TensorInfoIT_T1_EESF_NSC_IKS6_SE_EElS8_S8_SE_T6_
; %bb.0:
	s_load_dwordx4 s[16:19], s[4:5], 0x0
	v_mov_b32_e32 v1, 0
	s_add_u32 s2, s4, 0x508
	s_addc_u32 s3, s5, 0
                                        ; implicit-def: $sgpr7
                                        ; implicit-def: $sgpr10
	s_waitcnt lgkmcnt(0)
	v_cmp_gt_i64_e64 s[0:1], s[18:19], v[0:1]
	v_cmp_le_i64_e32 vcc, s[18:19], v[0:1]
	s_and_saveexec_b64 s[8:9], vcc
	s_xor_b64 s[8:9], exec, s[8:9]
	s_cbranch_execz .LBB58_2
; %bb.1:
	s_load_dword s7, s[2:3], 0xc
	s_waitcnt lgkmcnt(0)
	s_and_b32 s10, s7, 0xffff
.LBB58_2:
	s_or_saveexec_b64 s[8:9], s[8:9]
	s_load_dwordx2 s[20:21], s[4:5], 0xd0
	v_mov_b32_e32 v7, s7
	v_mov_b32_e32 v15, s10
	v_lshl_add_u32 v14, v0, 3, 0
	s_xor_b64 exec, exec, s[8:9]
	s_cbranch_execz .LBB58_6
; %bb.3:
	s_load_dword s7, s[2:3], 0xc
	s_mov_b32 s14, 0
	v_mov_b32_e32 v2, 0
	v_lshl_add_u32 v6, v0, 3, 0
	s_mov_b64 s[10:11], 0
	s_waitcnt lgkmcnt(0)
	s_and_b32 s12, s7, 0xffff
	s_lshl_b32 s13, s12, 3
	v_mov_b32_e32 v3, v2
	v_mov_b32_e32 v7, s14
	v_pk_mov_b32 v[4:5], v[0:1], v[0:1] op_sel:[0,1]
.LBB58_4:                               ; =>This Inner Loop Header: Depth=1
	v_add_co_u32_e32 v4, vcc, s12, v4
	v_addc_co_u32_e32 v5, vcc, v5, v7, vcc
	v_cmp_le_i64_e32 vcc, s[18:19], v[4:5]
	ds_write_b64 v6, v[2:3]
	s_or_b64 s[10:11], vcc, s[10:11]
	v_add_u32_e32 v6, s13, v6
	s_andn2_b64 exec, exec, s[10:11]
	s_cbranch_execnz .LBB58_4
; %bb.5:
	s_or_b64 exec, exec, s[10:11]
	v_mov_b32_e32 v7, s7
	v_mov_b32_e32 v15, s12
.LBB58_6:
	s_or_b64 exec, exec, s[8:9]
	s_load_dwordx8 s[8:15], s[4:5], 0x4e0
	v_mad_u64_u32 v[2:3], s[6:7], s6, v15, v[0:1]
	v_mov_b32_e32 v4, 0
	v_mov_b32_e32 v3, v4
	s_waitcnt lgkmcnt(0)
	v_cmp_gt_i64_e32 vcc, s[14:15], v[2:3]
	s_barrier
	s_and_saveexec_b64 s[6:7], vcc
	s_cbranch_execz .LBB58_22
; %bb.7:
	s_load_dword s26, s[4:5], 0x4d8
	s_load_dwordx2 s[22:23], s[4:5], 0x410
	s_load_dwordx2 s[24:25], s[4:5], 0x340
	s_add_u32 s27, s4, 0x340
	s_addc_u32 s29, s5, 0
	s_waitcnt lgkmcnt(0)
	s_cmp_gt_i32 s26, 1
	s_load_dword s28, s[2:3], 0x0
	s_cselect_b64 s[2:3], -1, 0
	s_sub_u32 s33, s12, s10
	s_subb_u32 s44, s13, s11
	s_mov_b32 s5, 0
	s_add_i32 s4, s26, -1
	s_add_i32 s45, s26, 1
	s_lshl_b64 s[4:5], s[4:5], 3
	s_add_u32 s4, s4, s27
	s_addc_u32 s5, s5, s29
	s_add_u32 s26, s4, 8
	v_cndmask_b32_e64 v5, 0, 1, s[2:3]
	s_waitcnt lgkmcnt(0)
	v_mul_lo_u32 v6, s28, v15
	s_addc_u32 s27, s5, 0
	s_mov_b64 s[28:29], 0
	v_cmp_ne_u32_e64 s[2:3], 1, v5
	s_mov_b64 s[30:31], src_shared_base
	s_branch .LBB58_10
.LBB58_8:                               ;   in Loop: Header=BB58_10 Depth=1
	s_or_b64 exec, exec, s[4:5]
	v_ashrrev_i32_e32 v11, 31, v10
	v_cmp_eq_u64_e32 vcc, s[8:9], v[10:11]
	v_subbrev_co_u32_e32 v5, vcc, 0, v10, vcc
	v_mov_b32_e32 v10, 0
	v_lshl_add_u32 v8, v5, 3, 0
	v_mov_b32_e32 v9, s31
	v_mov_b32_e32 v11, 0x3ff00000
	flat_atomic_add_f64 v[8:9], v[10:11]
.LBB58_9:                               ;   in Loop: Header=BB58_10 Depth=1
	s_or_b64 exec, exec, s[34:35]
	v_add_co_u32_e32 v2, vcc, v2, v6
	v_addc_co_u32_e32 v3, vcc, 0, v3, vcc
	v_cmp_le_i64_e32 vcc, s[14:15], v[2:3]
	s_or_b64 s[28:29], vcc, s[28:29]
	s_andn2_b64 exec, exec, s[28:29]
	s_cbranch_execz .LBB58_22
.LBB58_10:                              ; =>This Loop Header: Depth=1
                                        ;     Child Loop BB58_11 Depth 2
	s_and_b64 vcc, exec, s[2:3]
	v_pk_mov_b32 v[8:9], 0, 0
	s_mov_b64 s[34:35], s[26:27]
	s_mov_b32 s30, s45
	v_pk_mov_b32 v[10:11], v[2:3], v[2:3] op_sel:[0,1]
	v_pk_mov_b32 v[12:13], v[2:3], v[2:3] op_sel:[0,1]
	s_cbranch_vccnz .LBB58_17
.LBB58_11:                              ;   Parent Loop BB58_10 Depth=1
                                        ; =>  This Inner Loop Header: Depth=2
	s_load_dwordx2 s[36:37], s[34:35], 0x0
                                        ; implicit-def: $vgpr12_vgpr13
	s_waitcnt lgkmcnt(0)
	v_or_b32_e32 v5, s37, v11
	v_cmp_ne_u64_e32 vcc, 0, v[4:5]
	s_and_saveexec_b64 s[4:5], vcc
	s_xor_b64 s[38:39], exec, s[4:5]
	s_cbranch_execz .LBB58_13
; %bb.12:                               ;   in Loop: Header=BB58_11 Depth=2
	s_ashr_i32 s40, s37, 31
	s_add_u32 s4, s36, s40
	s_mov_b32 s41, s40
	s_addc_u32 s5, s37, s40
	s_xor_b64 s[42:43], s[4:5], s[40:41]
	v_cvt_f32_u32_e32 v5, s42
	v_cvt_f32_u32_e32 v12, s43
	s_sub_u32 s4, 0, s42
	s_subb_u32 s5, 0, s43
	v_mac_f32_e32 v5, 0x4f800000, v12
	v_rcp_f32_e32 v5, v5
	v_mul_f32_e32 v5, 0x5f7ffffc, v5
	v_mul_f32_e32 v12, 0x2f800000, v5
	v_trunc_f32_e32 v12, v12
	v_mac_f32_e32 v5, 0xcf800000, v12
	v_cvt_u32_f32_e32 v12, v12
	v_cvt_u32_f32_e32 v5, v5
	v_mul_lo_u32 v13, s4, v12
	v_mul_hi_u32 v17, s4, v5
	v_mul_lo_u32 v16, s5, v5
	v_add_u32_e32 v13, v17, v13
	v_mul_lo_u32 v18, s4, v5
	v_add_u32_e32 v13, v13, v16
	v_mul_lo_u32 v17, v5, v13
	v_mul_hi_u32 v19, v5, v18
	v_mul_hi_u32 v16, v5, v13
	v_add_co_u32_e32 v17, vcc, v19, v17
	v_addc_co_u32_e32 v16, vcc, 0, v16, vcc
	v_mul_hi_u32 v20, v12, v18
	v_mul_lo_u32 v18, v12, v18
	v_add_co_u32_e32 v17, vcc, v17, v18
	v_mul_hi_u32 v19, v12, v13
	v_addc_co_u32_e32 v16, vcc, v16, v20, vcc
	v_addc_co_u32_e32 v17, vcc, 0, v19, vcc
	v_mul_lo_u32 v13, v12, v13
	v_add_co_u32_e32 v13, vcc, v16, v13
	v_addc_co_u32_e32 v16, vcc, 0, v17, vcc
	v_add_co_u32_e32 v5, vcc, v5, v13
	v_addc_co_u32_e32 v12, vcc, v12, v16, vcc
	v_mul_lo_u32 v13, s4, v12
	v_mul_hi_u32 v16, s4, v5
	v_add_u32_e32 v13, v16, v13
	v_mul_lo_u32 v16, s5, v5
	v_add_u32_e32 v13, v13, v16
	v_mul_lo_u32 v17, s4, v5
	v_mul_hi_u32 v18, v12, v17
	v_mul_lo_u32 v19, v12, v17
	v_mul_lo_u32 v21, v5, v13
	v_mul_hi_u32 v17, v5, v17
	v_mul_hi_u32 v20, v5, v13
	v_add_co_u32_e32 v17, vcc, v17, v21
	v_addc_co_u32_e32 v20, vcc, 0, v20, vcc
	v_add_co_u32_e32 v17, vcc, v17, v19
	v_mul_hi_u32 v16, v12, v13
	v_addc_co_u32_e32 v17, vcc, v20, v18, vcc
	v_addc_co_u32_e32 v16, vcc, 0, v16, vcc
	v_mul_lo_u32 v13, v12, v13
	v_add_co_u32_e32 v13, vcc, v17, v13
	v_addc_co_u32_e32 v16, vcc, 0, v16, vcc
	v_add_co_u32_e32 v5, vcc, v5, v13
	v_addc_co_u32_e32 v16, vcc, v12, v16, vcc
	v_ashrrev_i32_e32 v18, 31, v11
	v_add_co_u32_e32 v12, vcc, v10, v18
	v_addc_co_u32_e32 v13, vcc, v11, v18, vcc
	v_xor_b32_e32 v20, v12, v18
	v_xor_b32_e32 v19, v13, v18
	v_mad_u64_u32 v[12:13], s[4:5], v20, v16, 0
	v_mul_hi_u32 v17, v20, v5
	v_add_co_u32_e32 v21, vcc, v17, v12
	v_addc_co_u32_e32 v22, vcc, 0, v13, vcc
	v_mad_u64_u32 v[12:13], s[4:5], v19, v16, 0
	v_mad_u64_u32 v[16:17], s[4:5], v19, v5, 0
	v_add_co_u32_e32 v5, vcc, v21, v16
	v_addc_co_u32_e32 v5, vcc, v22, v17, vcc
	v_addc_co_u32_e32 v13, vcc, 0, v13, vcc
	v_add_co_u32_e32 v5, vcc, v5, v12
	v_addc_co_u32_e32 v16, vcc, 0, v13, vcc
	v_mul_lo_u32 v17, s43, v5
	v_mul_lo_u32 v21, s42, v16
	v_mad_u64_u32 v[12:13], s[4:5], s42, v5, 0
	v_add3_u32 v13, v13, v21, v17
	v_sub_u32_e32 v17, v19, v13
	v_mov_b32_e32 v21, s43
	v_sub_co_u32_e32 v12, vcc, v20, v12
	v_subb_co_u32_e64 v17, s[4:5], v17, v21, vcc
	v_subrev_co_u32_e64 v20, s[4:5], s42, v12
	v_subbrev_co_u32_e64 v17, s[4:5], 0, v17, s[4:5]
	v_cmp_le_u32_e64 s[4:5], s43, v17
	v_cndmask_b32_e64 v21, 0, -1, s[4:5]
	v_cmp_le_u32_e64 s[4:5], s42, v20
	v_cndmask_b32_e64 v20, 0, -1, s[4:5]
	v_cmp_eq_u32_e64 s[4:5], s43, v17
	v_cndmask_b32_e64 v17, v21, v20, s[4:5]
	v_add_co_u32_e64 v20, s[4:5], 2, v5
	v_subb_co_u32_e32 v13, vcc, v19, v13, vcc
	v_addc_co_u32_e64 v21, s[4:5], 0, v16, s[4:5]
	v_cmp_le_u32_e32 vcc, s43, v13
	v_add_co_u32_e64 v22, s[4:5], 1, v5
	v_cndmask_b32_e64 v19, 0, -1, vcc
	v_cmp_le_u32_e32 vcc, s42, v12
	v_addc_co_u32_e64 v23, s[4:5], 0, v16, s[4:5]
	v_cndmask_b32_e64 v12, 0, -1, vcc
	v_cmp_eq_u32_e32 vcc, s43, v13
	v_cmp_ne_u32_e64 s[4:5], 0, v17
	v_cndmask_b32_e32 v12, v19, v12, vcc
	v_cmp_ne_u32_e32 vcc, 0, v12
	v_cndmask_b32_e64 v13, v22, v20, s[4:5]
	v_cndmask_b32_e64 v17, v23, v21, s[4:5]
	v_cndmask_b32_e32 v5, v5, v13, vcc
	v_xor_b32_e32 v13, s40, v18
	v_cndmask_b32_e32 v12, v16, v17, vcc
	v_xor_b32_e32 v5, v5, v13
	v_xor_b32_e32 v16, v12, v13
	v_sub_co_u32_e32 v12, vcc, v5, v13
	v_subb_co_u32_e32 v13, vcc, v16, v13, vcc
.LBB58_13:                              ;   in Loop: Header=BB58_11 Depth=2
	s_andn2_saveexec_b64 s[4:5], s[38:39]
	s_cbranch_execz .LBB58_15
; %bb.14:                               ;   in Loop: Header=BB58_11 Depth=2
	v_cvt_f32_u32_e32 v5, s36
	s_sub_i32 s38, 0, s36
	v_rcp_iflag_f32_e32 v5, v5
	v_mul_f32_e32 v5, 0x4f7ffffe, v5
	v_cvt_u32_f32_e32 v5, v5
	v_mul_lo_u32 v12, s38, v5
	v_mul_hi_u32 v12, v5, v12
	v_add_u32_e32 v5, v5, v12
	v_mul_hi_u32 v5, v10, v5
	v_mul_lo_u32 v12, v5, s36
	v_sub_u32_e32 v12, v10, v12
	v_add_u32_e32 v13, 1, v5
	v_subrev_u32_e32 v16, s36, v12
	v_cmp_le_u32_e32 vcc, s36, v12
	v_cndmask_b32_e32 v12, v12, v16, vcc
	v_cndmask_b32_e32 v5, v5, v13, vcc
	v_add_u32_e32 v13, 1, v5
	v_cmp_le_u32_e32 vcc, s36, v12
	v_cndmask_b32_e32 v12, v5, v13, vcc
	v_mov_b32_e32 v13, v4
.LBB58_15:                              ;   in Loop: Header=BB58_11 Depth=2
	s_or_b64 exec, exec, s[4:5]
	v_mad_u64_u32 v[16:17], s[4:5], v12, s36, 0
	s_load_dwordx2 s[4:5], s[34:35], 0xc8
	v_mul_lo_u32 v5, v13, s36
	v_mul_lo_u32 v18, v12, s37
	v_add3_u32 v5, v17, v18, v5
	v_sub_co_u32_e32 v10, vcc, v10, v16
	s_add_i32 s30, s30, -1
	v_subb_co_u32_e32 v5, vcc, v11, v5, vcc
	s_add_u32 s34, s34, -8
	s_waitcnt lgkmcnt(0)
	v_mul_lo_u32 v5, s4, v5
	v_mul_lo_u32 v11, s5, v10
	v_mad_u64_u32 v[8:9], s[4:5], s4, v10, v[8:9]
	s_addc_u32 s35, s35, -1
	s_cmp_gt_u32 s30, 2
	v_add3_u32 v9, v11, v9, v5
	s_cbranch_scc0 .LBB58_17
; %bb.16:                               ;   in Loop: Header=BB58_11 Depth=2
	v_pk_mov_b32 v[10:11], v[12:13], v[12:13] op_sel:[0,1]
	s_branch .LBB58_11
.LBB58_17:                              ;   in Loop: Header=BB58_10 Depth=1
	v_mul_lo_u32 v5, s23, v12
	v_mul_lo_u32 v13, s22, v13
	v_mad_u64_u32 v[10:11], s[4:5], s22, v12, 0
	v_add3_u32 v11, v11, v13, v5
	v_lshlrev_b64 v[10:11], 1, v[10:11]
	v_mov_b32_e32 v5, s25
	v_add_co_u32_e32 v10, vcc, s24, v10
	v_addc_co_u32_e32 v5, vcc, v5, v11, vcc
	v_lshlrev_b64 v[8:9], 1, v[8:9]
	v_add_co_u32_e32 v8, vcc, v10, v8
	v_addc_co_u32_e32 v9, vcc, v5, v9, vcc
	global_load_ushort v5, v[8:9], off
	s_waitcnt vmcnt(0)
	v_bfe_i32 v8, v5, 0, 16
	v_ashrrev_i32_e32 v9, 31, v8
	v_cmp_le_i64_e32 vcc, s[10:11], v[8:9]
	v_cmp_ge_i64_e64 s[4:5], s[12:13], v[8:9]
	s_and_b64 s[4:5], vcc, s[4:5]
	s_and_saveexec_b64 s[34:35], s[4:5]
	s_cbranch_execz .LBB58_9
; %bb.18:                               ;   in Loop: Header=BB58_10 Depth=1
	v_mov_b32_e32 v5, s11
	v_subrev_co_u32_e32 v8, vcc, s10, v8
	v_subb_co_u32_e32 v5, vcc, v9, v5, vcc
	v_mul_lo_u32 v5, v5, s8
	v_mul_lo_u32 v10, v8, s9
	v_mad_u64_u32 v[8:9], s[4:5], v8, s8, 0
	v_add3_u32 v9, v9, v10, v5
	v_or_b32_e32 v5, s44, v9
	v_cmp_ne_u64_e32 vcc, 0, v[4:5]
                                        ; implicit-def: $vgpr10_vgpr11
	s_and_saveexec_b64 s[4:5], vcc
	s_xor_b64 s[36:37], exec, s[4:5]
	s_cbranch_execz .LBB58_20
; %bb.19:                               ;   in Loop: Header=BB58_10 Depth=1
	s_ashr_i32 s38, s44, 31
	s_add_u32 s4, s33, s38
	s_mov_b32 s39, s38
	s_addc_u32 s5, s44, s38
	s_xor_b64 s[40:41], s[4:5], s[38:39]
	v_cvt_f32_u32_e32 v5, s40
	v_cvt_f32_u32_e32 v10, s41
	s_sub_u32 s4, 0, s40
	s_subb_u32 s5, 0, s41
	v_mac_f32_e32 v5, 0x4f800000, v10
	v_rcp_f32_e32 v5, v5
	v_mul_f32_e32 v5, 0x5f7ffffc, v5
	v_mul_f32_e32 v10, 0x2f800000, v5
	v_trunc_f32_e32 v10, v10
	v_mac_f32_e32 v5, 0xcf800000, v10
	v_cvt_u32_f32_e32 v10, v10
	v_cvt_u32_f32_e32 v5, v5
	v_mul_lo_u32 v11, s4, v10
	v_mul_hi_u32 v13, s4, v5
	v_mul_lo_u32 v12, s5, v5
	v_add_u32_e32 v11, v13, v11
	v_mul_lo_u32 v16, s4, v5
	v_add_u32_e32 v11, v11, v12
	v_mul_lo_u32 v13, v5, v11
	v_mul_hi_u32 v17, v5, v16
	v_mul_hi_u32 v12, v5, v11
	v_add_co_u32_e32 v13, vcc, v17, v13
	v_addc_co_u32_e32 v12, vcc, 0, v12, vcc
	v_mul_hi_u32 v18, v10, v16
	v_mul_lo_u32 v16, v10, v16
	v_add_co_u32_e32 v13, vcc, v13, v16
	v_mul_hi_u32 v17, v10, v11
	v_addc_co_u32_e32 v12, vcc, v12, v18, vcc
	v_addc_co_u32_e32 v13, vcc, 0, v17, vcc
	v_mul_lo_u32 v11, v10, v11
	v_add_co_u32_e32 v11, vcc, v12, v11
	v_addc_co_u32_e32 v12, vcc, 0, v13, vcc
	v_add_co_u32_e32 v5, vcc, v5, v11
	v_addc_co_u32_e32 v10, vcc, v10, v12, vcc
	v_mul_lo_u32 v11, s4, v10
	v_mul_hi_u32 v12, s4, v5
	v_add_u32_e32 v11, v12, v11
	v_mul_lo_u32 v12, s5, v5
	v_add_u32_e32 v11, v11, v12
	v_mul_lo_u32 v13, s4, v5
	v_mul_hi_u32 v16, v10, v13
	v_mul_lo_u32 v17, v10, v13
	v_mul_lo_u32 v19, v5, v11
	v_mul_hi_u32 v13, v5, v13
	v_mul_hi_u32 v18, v5, v11
	v_add_co_u32_e32 v13, vcc, v13, v19
	v_addc_co_u32_e32 v18, vcc, 0, v18, vcc
	v_add_co_u32_e32 v13, vcc, v13, v17
	v_mul_hi_u32 v12, v10, v11
	v_addc_co_u32_e32 v13, vcc, v18, v16, vcc
	v_addc_co_u32_e32 v12, vcc, 0, v12, vcc
	v_mul_lo_u32 v11, v10, v11
	v_add_co_u32_e32 v11, vcc, v13, v11
	v_addc_co_u32_e32 v12, vcc, 0, v12, vcc
	v_add_co_u32_e32 v5, vcc, v5, v11
	v_addc_co_u32_e32 v10, vcc, v10, v12, vcc
	v_ashrrev_i32_e32 v12, 31, v9
	v_add_co_u32_e32 v8, vcc, v8, v12
	v_addc_co_u32_e32 v9, vcc, v9, v12, vcc
	v_xor_b32_e32 v16, v8, v12
	v_xor_b32_e32 v13, v9, v12
	v_mad_u64_u32 v[8:9], s[4:5], v16, v10, 0
	v_mul_hi_u32 v11, v16, v5
	v_add_co_u32_e32 v17, vcc, v11, v8
	v_addc_co_u32_e32 v18, vcc, 0, v9, vcc
	v_mad_u64_u32 v[8:9], s[4:5], v13, v10, 0
	v_mad_u64_u32 v[10:11], s[4:5], v13, v5, 0
	v_add_co_u32_e32 v5, vcc, v17, v10
	v_addc_co_u32_e32 v5, vcc, v18, v11, vcc
	v_addc_co_u32_e32 v9, vcc, 0, v9, vcc
	v_add_co_u32_e32 v5, vcc, v5, v8
	v_addc_co_u32_e32 v8, vcc, 0, v9, vcc
	v_mul_lo_u32 v10, s41, v5
	v_mul_lo_u32 v11, s40, v8
	v_mad_u64_u32 v[8:9], s[4:5], s40, v5, 0
	v_add3_u32 v9, v9, v11, v10
	v_sub_u32_e32 v10, v13, v9
	v_mov_b32_e32 v11, s41
	v_sub_co_u32_e32 v8, vcc, v16, v8
	v_subb_co_u32_e64 v10, s[4:5], v10, v11, vcc
	v_subrev_co_u32_e64 v11, s[4:5], s40, v8
	v_subbrev_co_u32_e64 v10, s[4:5], 0, v10, s[4:5]
	v_cmp_le_u32_e64 s[4:5], s41, v10
	v_subb_co_u32_e32 v9, vcc, v13, v9, vcc
	v_cndmask_b32_e64 v16, 0, -1, s[4:5]
	v_cmp_le_u32_e64 s[4:5], s40, v11
	v_cmp_le_u32_e32 vcc, s41, v9
	v_cndmask_b32_e64 v11, 0, -1, s[4:5]
	v_cmp_eq_u32_e64 s[4:5], s41, v10
	v_cndmask_b32_e64 v13, 0, -1, vcc
	v_cmp_le_u32_e32 vcc, s40, v8
	v_cndmask_b32_e64 v10, v16, v11, s[4:5]
	v_cndmask_b32_e64 v8, 0, -1, vcc
	v_cmp_eq_u32_e32 vcc, s41, v9
	v_add_co_u32_e64 v11, s[4:5], 2, v5
	v_add_co_u32_e64 v16, s[4:5], 1, v5
	v_cndmask_b32_e32 v8, v13, v8, vcc
	v_cmp_ne_u32_e32 vcc, 0, v10
	v_cndmask_b32_e32 v9, v16, v11, vcc
	v_cmp_ne_u32_e32 vcc, 0, v8
	v_cndmask_b32_e32 v5, v5, v9, vcc
	v_xor_b32_e32 v8, s38, v12
	v_xor_b32_e32 v5, v5, v8
	v_sub_co_u32_e32 v10, vcc, v5, v8
                                        ; implicit-def: $vgpr8_vgpr9
.LBB58_20:                              ;   in Loop: Header=BB58_10 Depth=1
	s_andn2_saveexec_b64 s[4:5], s[36:37]
	s_cbranch_execz .LBB58_8
; %bb.21:                               ;   in Loop: Header=BB58_10 Depth=1
	v_cvt_f32_u32_e32 v5, s33
	s_sub_i32 s30, 0, s33
	v_rcp_iflag_f32_e32 v5, v5
	v_mul_f32_e32 v5, 0x4f7ffffe, v5
	v_cvt_u32_f32_e32 v5, v5
	v_mul_lo_u32 v9, s30, v5
	v_mul_hi_u32 v9, v5, v9
	v_add_u32_e32 v5, v5, v9
	v_mul_hi_u32 v5, v8, v5
	v_mul_lo_u32 v9, v5, s33
	v_sub_u32_e32 v8, v8, v9
	v_add_u32_e32 v10, 1, v5
	v_subrev_u32_e32 v9, s33, v8
	v_cmp_le_u32_e32 vcc, s33, v8
	v_cndmask_b32_e32 v8, v8, v9, vcc
	v_cndmask_b32_e32 v5, v5, v10, vcc
	v_add_u32_e32 v9, 1, v5
	v_cmp_le_u32_e32 vcc, s33, v8
	v_cndmask_b32_e32 v10, v5, v9, vcc
	s_branch .LBB58_8
.LBB58_22:
	s_or_b64 exec, exec, s[6:7]
; %bb.23:
	s_waitcnt lgkmcnt(0)
	s_barrier
	s_and_saveexec_b64 s[2:3], s[0:1]
	s_cbranch_execz .LBB58_26
; %bb.24:
	v_mad_u64_u32 v[4:5], s[0:1], s20, v0, 0
	v_mov_b32_e32 v6, v5
	v_and_b32_e32 v2, 0xffff, v7
	v_mad_u64_u32 v[6:7], s[0:1], s21, v0, v[6:7]
	v_mov_b32_e32 v5, v6
	v_mad_u64_u32 v[6:7], s[0:1], s20, v2, 0
	v_mov_b32_e32 v8, v7
	v_lshlrev_b64 v[4:5], 3, v[4:5]
	v_mad_u64_u32 v[8:9], s[0:1], s21, v2, v[8:9]
	v_mov_b32_e32 v3, s17
	v_add_co_u32_e32 v4, vcc, s16, v4
	v_mov_b32_e32 v7, v8
	v_addc_co_u32_e32 v5, vcc, v3, v5, vcc
	v_lshlrev_b64 v[6:7], 3, v[6:7]
	v_lshlrev_b32_e32 v3, 3, v15
	s_mov_b64 s[0:1], 0
.LBB58_25:                              ; =>This Inner Loop Header: Depth=1
	ds_read_b64 v[8:9], v14
	v_add_co_u32_e32 v0, vcc, v0, v2
	v_addc_co_u32_e32 v1, vcc, 0, v1, vcc
	s_waitcnt lgkmcnt(0)
	global_atomic_add_f64 v[4:5], v[8:9], off
	v_cmp_le_i64_e32 vcc, s[18:19], v[0:1]
	s_or_b64 s[0:1], vcc, s[0:1]
	v_add_co_u32_e32 v4, vcc, v4, v6
	v_add_u32_e32 v14, v14, v3
	v_addc_co_u32_e32 v5, vcc, v5, v7, vcc
	s_andn2_b64 exec, exec, s[0:1]
	s_cbranch_execnz .LBB58_25
.LBB58_26:
	s_endpgm
	.section	.rodata,"a",@progbits
	.p2align	6, 0x0
	.amdhsa_kernel _ZN2at4cuda17kernelHistogram1DIdslLi1ELi2ELin1ELNS0_23CUDAHistogramMemoryTypeE0EZNS0_21CUDA_tensor_histogramIdsLb1EEEbNS_6TensorES4_S4_lNS_14AccumulateTypeIT0_Lb1EE4typeES8_NS0_13TensorArgTypeES9_S9_EUllE0_EEvNS0_6detail10TensorInfoIT_T1_EESF_NSC_IKS6_SE_EElS8_S8_SE_T6_
		.amdhsa_group_segment_fixed_size 0
		.amdhsa_private_segment_fixed_size 0
		.amdhsa_kernarg_size 1544
		.amdhsa_user_sgpr_count 6
		.amdhsa_user_sgpr_private_segment_buffer 1
		.amdhsa_user_sgpr_dispatch_ptr 0
		.amdhsa_user_sgpr_queue_ptr 0
		.amdhsa_user_sgpr_kernarg_segment_ptr 1
		.amdhsa_user_sgpr_dispatch_id 0
		.amdhsa_user_sgpr_flat_scratch_init 0
		.amdhsa_user_sgpr_kernarg_preload_length 0
		.amdhsa_user_sgpr_kernarg_preload_offset 0
		.amdhsa_user_sgpr_private_segment_size 0
		.amdhsa_uses_dynamic_stack 0
		.amdhsa_system_sgpr_private_segment_wavefront_offset 0
		.amdhsa_system_sgpr_workgroup_id_x 1
		.amdhsa_system_sgpr_workgroup_id_y 0
		.amdhsa_system_sgpr_workgroup_id_z 0
		.amdhsa_system_sgpr_workgroup_info 0
		.amdhsa_system_vgpr_workitem_id 0
		.amdhsa_next_free_vgpr 24
		.amdhsa_next_free_sgpr 46
		.amdhsa_accum_offset 24
		.amdhsa_reserve_vcc 1
		.amdhsa_reserve_flat_scratch 0
		.amdhsa_float_round_mode_32 0
		.amdhsa_float_round_mode_16_64 0
		.amdhsa_float_denorm_mode_32 3
		.amdhsa_float_denorm_mode_16_64 3
		.amdhsa_dx10_clamp 1
		.amdhsa_ieee_mode 1
		.amdhsa_fp16_overflow 0
		.amdhsa_tg_split 0
		.amdhsa_exception_fp_ieee_invalid_op 0
		.amdhsa_exception_fp_denorm_src 0
		.amdhsa_exception_fp_ieee_div_zero 0
		.amdhsa_exception_fp_ieee_overflow 0
		.amdhsa_exception_fp_ieee_underflow 0
		.amdhsa_exception_fp_ieee_inexact 0
		.amdhsa_exception_int_div_zero 0
	.end_amdhsa_kernel
	.section	.text._ZN2at4cuda17kernelHistogram1DIdslLi1ELi2ELin1ELNS0_23CUDAHistogramMemoryTypeE0EZNS0_21CUDA_tensor_histogramIdsLb1EEEbNS_6TensorES4_S4_lNS_14AccumulateTypeIT0_Lb1EE4typeES8_NS0_13TensorArgTypeES9_S9_EUllE0_EEvNS0_6detail10TensorInfoIT_T1_EESF_NSC_IKS6_SE_EElS8_S8_SE_T6_,"axG",@progbits,_ZN2at4cuda17kernelHistogram1DIdslLi1ELi2ELin1ELNS0_23CUDAHistogramMemoryTypeE0EZNS0_21CUDA_tensor_histogramIdsLb1EEEbNS_6TensorES4_S4_lNS_14AccumulateTypeIT0_Lb1EE4typeES8_NS0_13TensorArgTypeES9_S9_EUllE0_EEvNS0_6detail10TensorInfoIT_T1_EESF_NSC_IKS6_SE_EElS8_S8_SE_T6_,comdat
.Lfunc_end58:
	.size	_ZN2at4cuda17kernelHistogram1DIdslLi1ELi2ELin1ELNS0_23CUDAHistogramMemoryTypeE0EZNS0_21CUDA_tensor_histogramIdsLb1EEEbNS_6TensorES4_S4_lNS_14AccumulateTypeIT0_Lb1EE4typeES8_NS0_13TensorArgTypeES9_S9_EUllE0_EEvNS0_6detail10TensorInfoIT_T1_EESF_NSC_IKS6_SE_EElS8_S8_SE_T6_, .Lfunc_end58-_ZN2at4cuda17kernelHistogram1DIdslLi1ELi2ELin1ELNS0_23CUDAHistogramMemoryTypeE0EZNS0_21CUDA_tensor_histogramIdsLb1EEEbNS_6TensorES4_S4_lNS_14AccumulateTypeIT0_Lb1EE4typeES8_NS0_13TensorArgTypeES9_S9_EUllE0_EEvNS0_6detail10TensorInfoIT_T1_EESF_NSC_IKS6_SE_EElS8_S8_SE_T6_
                                        ; -- End function
	.section	.AMDGPU.csdata,"",@progbits
; Kernel info:
; codeLenInByte = 2528
; NumSgprs: 50
; NumVgprs: 24
; NumAgprs: 0
; TotalNumVgprs: 24
; ScratchSize: 0
; MemoryBound: 0
; FloatMode: 240
; IeeeMode: 1
; LDSByteSize: 0 bytes/workgroup (compile time only)
; SGPRBlocks: 6
; VGPRBlocks: 2
; NumSGPRsForWavesPerEU: 50
; NumVGPRsForWavesPerEU: 24
; AccumOffset: 24
; Occupancy: 8
; WaveLimiterHint : 1
; COMPUTE_PGM_RSRC2:SCRATCH_EN: 0
; COMPUTE_PGM_RSRC2:USER_SGPR: 6
; COMPUTE_PGM_RSRC2:TRAP_HANDLER: 0
; COMPUTE_PGM_RSRC2:TGID_X_EN: 1
; COMPUTE_PGM_RSRC2:TGID_Y_EN: 0
; COMPUTE_PGM_RSRC2:TGID_Z_EN: 0
; COMPUTE_PGM_RSRC2:TIDIG_COMP_CNT: 0
; COMPUTE_PGM_RSRC3_GFX90A:ACCUM_OFFSET: 5
; COMPUTE_PGM_RSRC3_GFX90A:TG_SPLIT: 0
	.section	.text._ZN2at4cuda17kernelHistogram1DIdslLi1ELi2ELin1ELNS0_23CUDAHistogramMemoryTypeE1EZNS0_21CUDA_tensor_histogramIdsLb1EEEbNS_6TensorES4_S4_lNS_14AccumulateTypeIT0_Lb1EE4typeES8_NS0_13TensorArgTypeES9_S9_EUllE0_EEvNS0_6detail10TensorInfoIT_T1_EESF_NSC_IKS6_SE_EElS8_S8_SE_T6_,"axG",@progbits,_ZN2at4cuda17kernelHistogram1DIdslLi1ELi2ELin1ELNS0_23CUDAHistogramMemoryTypeE1EZNS0_21CUDA_tensor_histogramIdsLb1EEEbNS_6TensorES4_S4_lNS_14AccumulateTypeIT0_Lb1EE4typeES8_NS0_13TensorArgTypeES9_S9_EUllE0_EEvNS0_6detail10TensorInfoIT_T1_EESF_NSC_IKS6_SE_EElS8_S8_SE_T6_,comdat
	.protected	_ZN2at4cuda17kernelHistogram1DIdslLi1ELi2ELin1ELNS0_23CUDAHistogramMemoryTypeE1EZNS0_21CUDA_tensor_histogramIdsLb1EEEbNS_6TensorES4_S4_lNS_14AccumulateTypeIT0_Lb1EE4typeES8_NS0_13TensorArgTypeES9_S9_EUllE0_EEvNS0_6detail10TensorInfoIT_T1_EESF_NSC_IKS6_SE_EElS8_S8_SE_T6_ ; -- Begin function _ZN2at4cuda17kernelHistogram1DIdslLi1ELi2ELin1ELNS0_23CUDAHistogramMemoryTypeE1EZNS0_21CUDA_tensor_histogramIdsLb1EEEbNS_6TensorES4_S4_lNS_14AccumulateTypeIT0_Lb1EE4typeES8_NS0_13TensorArgTypeES9_S9_EUllE0_EEvNS0_6detail10TensorInfoIT_T1_EESF_NSC_IKS6_SE_EElS8_S8_SE_T6_
	.globl	_ZN2at4cuda17kernelHistogram1DIdslLi1ELi2ELin1ELNS0_23CUDAHistogramMemoryTypeE1EZNS0_21CUDA_tensor_histogramIdsLb1EEEbNS_6TensorES4_S4_lNS_14AccumulateTypeIT0_Lb1EE4typeES8_NS0_13TensorArgTypeES9_S9_EUllE0_EEvNS0_6detail10TensorInfoIT_T1_EESF_NSC_IKS6_SE_EElS8_S8_SE_T6_
	.p2align	8
	.type	_ZN2at4cuda17kernelHistogram1DIdslLi1ELi2ELin1ELNS0_23CUDAHistogramMemoryTypeE1EZNS0_21CUDA_tensor_histogramIdsLb1EEEbNS_6TensorES4_S4_lNS_14AccumulateTypeIT0_Lb1EE4typeES8_NS0_13TensorArgTypeES9_S9_EUllE0_EEvNS0_6detail10TensorInfoIT_T1_EESF_NSC_IKS6_SE_EElS8_S8_SE_T6_,@function
_ZN2at4cuda17kernelHistogram1DIdslLi1ELi2ELin1ELNS0_23CUDAHistogramMemoryTypeE1EZNS0_21CUDA_tensor_histogramIdsLb1EEEbNS_6TensorES4_S4_lNS_14AccumulateTypeIT0_Lb1EE4typeES8_NS0_13TensorArgTypeES9_S9_EUllE0_EEvNS0_6detail10TensorInfoIT_T1_EESF_NSC_IKS6_SE_EElS8_S8_SE_T6_: ; @_ZN2at4cuda17kernelHistogram1DIdslLi1ELi2ELin1ELNS0_23CUDAHistogramMemoryTypeE1EZNS0_21CUDA_tensor_histogramIdsLb1EEEbNS_6TensorES4_S4_lNS_14AccumulateTypeIT0_Lb1EE4typeES8_NS0_13TensorArgTypeES9_S9_EUllE0_EEvNS0_6detail10TensorInfoIT_T1_EESF_NSC_IKS6_SE_EElS8_S8_SE_T6_
; %bb.0:
	s_load_dword s2, s[4:5], 0x514
	s_load_dwordx8 s[8:15], s[4:5], 0x4e0
	s_add_u32 s0, s4, 0x508
	s_addc_u32 s1, s5, 0
	v_mov_b32_e32 v2, 0
	s_waitcnt lgkmcnt(0)
	s_and_b32 s2, s2, 0xffff
	s_mul_i32 s6, s6, s2
	v_add_u32_e32 v0, s6, v0
	v_mov_b32_e32 v1, v2
	v_cmp_gt_i64_e32 vcc, s[14:15], v[0:1]
	s_and_saveexec_b64 s[6:7], vcc
	s_cbranch_execz .LBB59_16
; %bb.1:
	s_load_dword s3, s[4:5], 0x4d8
	s_load_dwordx2 s[6:7], s[4:5], 0x0
	s_load_dwordx2 s[16:17], s[4:5], 0xd0
	s_load_dword s24, s[0:1], 0x0
	s_add_u32 s22, s4, 0x340
	s_addc_u32 s23, s5, 0
	s_mov_b32 s38, 0
	s_waitcnt lgkmcnt(0)
	s_cmp_gt_i32 s3, 1
	s_cselect_b64 s[0:1], -1, 0
	s_sub_u32 s33, s12, s10
	s_subb_u32 s36, s13, s11
	s_mul_i32 s37, s24, s2
	s_add_i32 s39, s3, 1
	s_add_i32 s2, s3, -1
	s_mov_b32 s3, s38
	s_load_dwordx2 s[18:19], s[4:5], 0x410
	s_load_dwordx2 s[20:21], s[4:5], 0x340
	s_lshl_b64 s[2:3], s[2:3], 3
	s_add_u32 s2, s2, s22
	s_addc_u32 s3, s3, s23
	s_add_u32 s4, s2, 8
	v_cndmask_b32_e64 v3, 0, 1, s[0:1]
	s_addc_u32 s5, s3, 0
	s_mov_b64 s[22:23], 0
	v_cmp_ne_u32_e64 s[0:1], 1, v3
	s_branch .LBB59_4
.LBB59_2:                               ;   in Loop: Header=BB59_4 Depth=1
	s_or_b64 exec, exec, s[2:3]
	v_ashrrev_i32_e32 v7, 31, v6
	v_cmp_eq_u64_e32 vcc, s[8:9], v[6:7]
	v_cndmask_b32_e64 v3, 0, 1, vcc
	v_sub_co_u32_e32 v3, vcc, v6, v3
	v_subbrev_co_u32_e32 v4, vcc, 0, v7, vcc
	v_mul_lo_u32 v6, v4, s16
	v_mul_lo_u32 v7, v3, s17
	v_mad_u64_u32 v[4:5], s[2:3], v3, s16, 0
	v_add3_u32 v5, v5, v7, v6
	v_lshlrev_b64 v[4:5], 3, v[4:5]
	v_mov_b32_e32 v3, s7
	v_add_co_u32_e32 v4, vcc, s6, v4
	v_mov_b32_e32 v6, 0
	v_addc_co_u32_e32 v5, vcc, v3, v5, vcc
	v_mov_b32_e32 v7, 0x3ff00000
	global_atomic_add_f64 v[4:5], v[6:7], off
.LBB59_3:                               ;   in Loop: Header=BB59_4 Depth=1
	s_or_b64 exec, exec, s[24:25]
	v_mov_b32_e32 v3, s38
	v_add_co_u32_e32 v0, vcc, s37, v0
	v_addc_co_u32_e32 v1, vcc, v1, v3, vcc
	v_cmp_le_i64_e32 vcc, s[14:15], v[0:1]
	s_or_b64 s[22:23], vcc, s[22:23]
	s_andn2_b64 exec, exec, s[22:23]
	s_cbranch_execz .LBB59_16
.LBB59_4:                               ; =>This Loop Header: Depth=1
                                        ;     Child Loop BB59_5 Depth 2
	s_and_b64 vcc, exec, s[0:1]
	v_pk_mov_b32 v[4:5], 0, 0
	s_mov_b64 s[24:25], s[4:5]
	s_mov_b32 s40, s39
	v_pk_mov_b32 v[6:7], v[0:1], v[0:1] op_sel:[0,1]
	v_pk_mov_b32 v[8:9], v[0:1], v[0:1] op_sel:[0,1]
	s_cbranch_vccnz .LBB59_11
.LBB59_5:                               ;   Parent Loop BB59_4 Depth=1
                                        ; =>  This Inner Loop Header: Depth=2
	s_load_dwordx2 s[26:27], s[24:25], 0x0
                                        ; implicit-def: $vgpr8_vgpr9
	s_waitcnt lgkmcnt(0)
	v_or_b32_e32 v3, s27, v7
	v_cmp_ne_u64_e32 vcc, 0, v[2:3]
	s_and_saveexec_b64 s[2:3], vcc
	s_xor_b64 s[28:29], exec, s[2:3]
	s_cbranch_execz .LBB59_7
; %bb.6:                                ;   in Loop: Header=BB59_5 Depth=2
	s_ashr_i32 s30, s27, 31
	s_add_u32 s2, s26, s30
	s_mov_b32 s31, s30
	s_addc_u32 s3, s27, s30
	s_xor_b64 s[34:35], s[2:3], s[30:31]
	v_cvt_f32_u32_e32 v3, s34
	v_cvt_f32_u32_e32 v8, s35
	s_sub_u32 s2, 0, s34
	s_subb_u32 s3, 0, s35
	v_mac_f32_e32 v3, 0x4f800000, v8
	v_rcp_f32_e32 v3, v3
	v_mul_f32_e32 v3, 0x5f7ffffc, v3
	v_mul_f32_e32 v8, 0x2f800000, v3
	v_trunc_f32_e32 v8, v8
	v_mac_f32_e32 v3, 0xcf800000, v8
	v_cvt_u32_f32_e32 v8, v8
	v_cvt_u32_f32_e32 v3, v3
	v_mul_lo_u32 v9, s2, v8
	v_mul_hi_u32 v11, s2, v3
	v_mul_lo_u32 v10, s3, v3
	v_add_u32_e32 v9, v11, v9
	v_mul_lo_u32 v12, s2, v3
	v_add_u32_e32 v9, v9, v10
	v_mul_lo_u32 v11, v3, v9
	v_mul_hi_u32 v13, v3, v12
	v_mul_hi_u32 v10, v3, v9
	v_add_co_u32_e32 v11, vcc, v13, v11
	v_addc_co_u32_e32 v10, vcc, 0, v10, vcc
	v_mul_hi_u32 v14, v8, v12
	v_mul_lo_u32 v12, v8, v12
	v_add_co_u32_e32 v11, vcc, v11, v12
	v_mul_hi_u32 v13, v8, v9
	v_addc_co_u32_e32 v10, vcc, v10, v14, vcc
	v_addc_co_u32_e32 v11, vcc, 0, v13, vcc
	v_mul_lo_u32 v9, v8, v9
	v_add_co_u32_e32 v9, vcc, v10, v9
	v_addc_co_u32_e32 v10, vcc, 0, v11, vcc
	v_add_co_u32_e32 v3, vcc, v3, v9
	v_addc_co_u32_e32 v8, vcc, v8, v10, vcc
	v_mul_lo_u32 v9, s2, v8
	v_mul_hi_u32 v10, s2, v3
	v_add_u32_e32 v9, v10, v9
	v_mul_lo_u32 v10, s3, v3
	v_add_u32_e32 v9, v9, v10
	v_mul_lo_u32 v11, s2, v3
	v_mul_hi_u32 v12, v8, v11
	v_mul_lo_u32 v13, v8, v11
	v_mul_lo_u32 v15, v3, v9
	v_mul_hi_u32 v11, v3, v11
	v_mul_hi_u32 v14, v3, v9
	v_add_co_u32_e32 v11, vcc, v11, v15
	v_addc_co_u32_e32 v14, vcc, 0, v14, vcc
	v_add_co_u32_e32 v11, vcc, v11, v13
	v_mul_hi_u32 v10, v8, v9
	v_addc_co_u32_e32 v11, vcc, v14, v12, vcc
	v_addc_co_u32_e32 v10, vcc, 0, v10, vcc
	v_mul_lo_u32 v9, v8, v9
	v_add_co_u32_e32 v9, vcc, v11, v9
	v_addc_co_u32_e32 v10, vcc, 0, v10, vcc
	v_add_co_u32_e32 v3, vcc, v3, v9
	v_addc_co_u32_e32 v10, vcc, v8, v10, vcc
	v_ashrrev_i32_e32 v12, 31, v7
	v_add_co_u32_e32 v8, vcc, v6, v12
	v_addc_co_u32_e32 v9, vcc, v7, v12, vcc
	v_xor_b32_e32 v14, v8, v12
	v_xor_b32_e32 v13, v9, v12
	v_mad_u64_u32 v[8:9], s[2:3], v14, v10, 0
	v_mul_hi_u32 v11, v14, v3
	v_add_co_u32_e32 v15, vcc, v11, v8
	v_addc_co_u32_e32 v16, vcc, 0, v9, vcc
	v_mad_u64_u32 v[8:9], s[2:3], v13, v10, 0
	v_mad_u64_u32 v[10:11], s[2:3], v13, v3, 0
	v_add_co_u32_e32 v3, vcc, v15, v10
	v_addc_co_u32_e32 v3, vcc, v16, v11, vcc
	v_addc_co_u32_e32 v9, vcc, 0, v9, vcc
	v_add_co_u32_e32 v3, vcc, v3, v8
	v_addc_co_u32_e32 v10, vcc, 0, v9, vcc
	v_mul_lo_u32 v11, s35, v3
	v_mul_lo_u32 v15, s34, v10
	v_mad_u64_u32 v[8:9], s[2:3], s34, v3, 0
	v_add3_u32 v9, v9, v15, v11
	v_sub_u32_e32 v11, v13, v9
	v_mov_b32_e32 v15, s35
	v_sub_co_u32_e32 v8, vcc, v14, v8
	v_subb_co_u32_e64 v11, s[2:3], v11, v15, vcc
	v_subrev_co_u32_e64 v14, s[2:3], s34, v8
	v_subbrev_co_u32_e64 v11, s[2:3], 0, v11, s[2:3]
	v_cmp_le_u32_e64 s[2:3], s35, v11
	v_cndmask_b32_e64 v15, 0, -1, s[2:3]
	v_cmp_le_u32_e64 s[2:3], s34, v14
	v_cndmask_b32_e64 v14, 0, -1, s[2:3]
	v_cmp_eq_u32_e64 s[2:3], s35, v11
	v_cndmask_b32_e64 v11, v15, v14, s[2:3]
	v_add_co_u32_e64 v14, s[2:3], 2, v3
	v_subb_co_u32_e32 v9, vcc, v13, v9, vcc
	v_addc_co_u32_e64 v15, s[2:3], 0, v10, s[2:3]
	v_cmp_le_u32_e32 vcc, s35, v9
	v_add_co_u32_e64 v16, s[2:3], 1, v3
	v_cndmask_b32_e64 v13, 0, -1, vcc
	v_cmp_le_u32_e32 vcc, s34, v8
	v_addc_co_u32_e64 v17, s[2:3], 0, v10, s[2:3]
	v_cndmask_b32_e64 v8, 0, -1, vcc
	v_cmp_eq_u32_e32 vcc, s35, v9
	v_cmp_ne_u32_e64 s[2:3], 0, v11
	v_cndmask_b32_e32 v8, v13, v8, vcc
	v_cmp_ne_u32_e32 vcc, 0, v8
	v_cndmask_b32_e64 v9, v16, v14, s[2:3]
	v_cndmask_b32_e64 v11, v17, v15, s[2:3]
	v_cndmask_b32_e32 v3, v3, v9, vcc
	v_xor_b32_e32 v9, s30, v12
	v_cndmask_b32_e32 v8, v10, v11, vcc
	v_xor_b32_e32 v3, v3, v9
	v_xor_b32_e32 v10, v8, v9
	v_sub_co_u32_e32 v8, vcc, v3, v9
	v_subb_co_u32_e32 v9, vcc, v10, v9, vcc
.LBB59_7:                               ;   in Loop: Header=BB59_5 Depth=2
	s_andn2_saveexec_b64 s[2:3], s[28:29]
	s_cbranch_execz .LBB59_9
; %bb.8:                                ;   in Loop: Header=BB59_5 Depth=2
	v_cvt_f32_u32_e32 v3, s26
	s_sub_i32 s28, 0, s26
	v_rcp_iflag_f32_e32 v3, v3
	v_mul_f32_e32 v3, 0x4f7ffffe, v3
	v_cvt_u32_f32_e32 v3, v3
	v_mul_lo_u32 v8, s28, v3
	v_mul_hi_u32 v8, v3, v8
	v_add_u32_e32 v3, v3, v8
	v_mul_hi_u32 v3, v6, v3
	v_mul_lo_u32 v8, v3, s26
	v_sub_u32_e32 v8, v6, v8
	v_add_u32_e32 v9, 1, v3
	v_subrev_u32_e32 v10, s26, v8
	v_cmp_le_u32_e32 vcc, s26, v8
	v_cndmask_b32_e32 v8, v8, v10, vcc
	v_cndmask_b32_e32 v3, v3, v9, vcc
	v_add_u32_e32 v9, 1, v3
	v_cmp_le_u32_e32 vcc, s26, v8
	v_cndmask_b32_e32 v8, v3, v9, vcc
	v_mov_b32_e32 v9, v2
.LBB59_9:                               ;   in Loop: Header=BB59_5 Depth=2
	s_or_b64 exec, exec, s[2:3]
	v_mad_u64_u32 v[10:11], s[2:3], v8, s26, 0
	s_load_dwordx2 s[2:3], s[24:25], 0xc8
	v_mul_lo_u32 v3, v9, s26
	v_mul_lo_u32 v12, v8, s27
	v_add3_u32 v3, v11, v12, v3
	v_sub_co_u32_e32 v6, vcc, v6, v10
	s_add_i32 s40, s40, -1
	v_subb_co_u32_e32 v3, vcc, v7, v3, vcc
	s_add_u32 s24, s24, -8
	s_waitcnt lgkmcnt(0)
	v_mul_lo_u32 v3, s2, v3
	v_mul_lo_u32 v7, s3, v6
	v_mad_u64_u32 v[4:5], s[2:3], s2, v6, v[4:5]
	s_addc_u32 s25, s25, -1
	s_cmp_gt_u32 s40, 2
	v_add3_u32 v5, v7, v5, v3
	s_cbranch_scc0 .LBB59_11
; %bb.10:                               ;   in Loop: Header=BB59_5 Depth=2
	v_pk_mov_b32 v[6:7], v[8:9], v[8:9] op_sel:[0,1]
	s_branch .LBB59_5
.LBB59_11:                              ;   in Loop: Header=BB59_4 Depth=1
	s_waitcnt lgkmcnt(0)
	v_mul_lo_u32 v3, s19, v8
	v_mul_lo_u32 v9, s18, v9
	v_mad_u64_u32 v[6:7], s[2:3], s18, v8, 0
	v_add3_u32 v7, v7, v9, v3
	v_lshlrev_b64 v[6:7], 1, v[6:7]
	v_mov_b32_e32 v3, s21
	v_add_co_u32_e32 v6, vcc, s20, v6
	v_addc_co_u32_e32 v3, vcc, v3, v7, vcc
	v_lshlrev_b64 v[4:5], 1, v[4:5]
	v_add_co_u32_e32 v4, vcc, v6, v4
	v_addc_co_u32_e32 v5, vcc, v3, v5, vcc
	global_load_ushort v3, v[4:5], off
	s_waitcnt vmcnt(0)
	v_bfe_i32 v4, v3, 0, 16
	v_ashrrev_i32_e32 v5, 31, v4
	v_cmp_le_i64_e32 vcc, s[10:11], v[4:5]
	v_cmp_ge_i64_e64 s[2:3], s[12:13], v[4:5]
	s_and_b64 s[2:3], vcc, s[2:3]
	s_and_saveexec_b64 s[24:25], s[2:3]
	s_cbranch_execz .LBB59_3
; %bb.12:                               ;   in Loop: Header=BB59_4 Depth=1
	v_mov_b32_e32 v3, s11
	v_subrev_co_u32_e32 v4, vcc, s10, v4
	v_subb_co_u32_e32 v3, vcc, v5, v3, vcc
	v_mul_lo_u32 v3, v3, s8
	v_mul_lo_u32 v6, v4, s9
	v_mad_u64_u32 v[4:5], s[2:3], v4, s8, 0
	v_add3_u32 v5, v5, v6, v3
	v_or_b32_e32 v3, s36, v5
	v_cmp_ne_u64_e32 vcc, 0, v[2:3]
                                        ; implicit-def: $vgpr6_vgpr7
	s_and_saveexec_b64 s[2:3], vcc
	s_xor_b64 s[26:27], exec, s[2:3]
	s_cbranch_execz .LBB59_14
; %bb.13:                               ;   in Loop: Header=BB59_4 Depth=1
	s_ashr_i32 s28, s36, 31
	s_add_u32 s2, s33, s28
	s_mov_b32 s29, s28
	s_addc_u32 s3, s36, s28
	s_xor_b64 s[30:31], s[2:3], s[28:29]
	v_cvt_f32_u32_e32 v3, s30
	v_cvt_f32_u32_e32 v6, s31
	s_sub_u32 s2, 0, s30
	s_subb_u32 s3, 0, s31
	v_mac_f32_e32 v3, 0x4f800000, v6
	v_rcp_f32_e32 v3, v3
	v_mul_f32_e32 v3, 0x5f7ffffc, v3
	v_mul_f32_e32 v6, 0x2f800000, v3
	v_trunc_f32_e32 v6, v6
	v_mac_f32_e32 v3, 0xcf800000, v6
	v_cvt_u32_f32_e32 v6, v6
	v_cvt_u32_f32_e32 v3, v3
	v_mul_lo_u32 v7, s2, v6
	v_mul_hi_u32 v9, s2, v3
	v_mul_lo_u32 v8, s3, v3
	v_add_u32_e32 v7, v9, v7
	v_mul_lo_u32 v10, s2, v3
	v_add_u32_e32 v7, v7, v8
	v_mul_lo_u32 v9, v3, v7
	v_mul_hi_u32 v11, v3, v10
	v_mul_hi_u32 v8, v3, v7
	v_add_co_u32_e32 v9, vcc, v11, v9
	v_addc_co_u32_e32 v8, vcc, 0, v8, vcc
	v_mul_hi_u32 v12, v6, v10
	v_mul_lo_u32 v10, v6, v10
	v_add_co_u32_e32 v9, vcc, v9, v10
	v_mul_hi_u32 v11, v6, v7
	v_addc_co_u32_e32 v8, vcc, v8, v12, vcc
	v_addc_co_u32_e32 v9, vcc, 0, v11, vcc
	v_mul_lo_u32 v7, v6, v7
	v_add_co_u32_e32 v7, vcc, v8, v7
	v_addc_co_u32_e32 v8, vcc, 0, v9, vcc
	v_add_co_u32_e32 v3, vcc, v3, v7
	v_addc_co_u32_e32 v6, vcc, v6, v8, vcc
	v_mul_lo_u32 v7, s2, v6
	v_mul_hi_u32 v8, s2, v3
	v_add_u32_e32 v7, v8, v7
	v_mul_lo_u32 v8, s3, v3
	v_add_u32_e32 v7, v7, v8
	v_mul_lo_u32 v9, s2, v3
	v_mul_hi_u32 v10, v6, v9
	v_mul_lo_u32 v11, v6, v9
	v_mul_lo_u32 v13, v3, v7
	v_mul_hi_u32 v9, v3, v9
	v_mul_hi_u32 v12, v3, v7
	v_add_co_u32_e32 v9, vcc, v9, v13
	v_addc_co_u32_e32 v12, vcc, 0, v12, vcc
	v_add_co_u32_e32 v9, vcc, v9, v11
	v_mul_hi_u32 v8, v6, v7
	v_addc_co_u32_e32 v9, vcc, v12, v10, vcc
	v_addc_co_u32_e32 v8, vcc, 0, v8, vcc
	v_mul_lo_u32 v7, v6, v7
	v_add_co_u32_e32 v7, vcc, v9, v7
	v_addc_co_u32_e32 v8, vcc, 0, v8, vcc
	v_add_co_u32_e32 v3, vcc, v3, v7
	v_addc_co_u32_e32 v6, vcc, v6, v8, vcc
	v_ashrrev_i32_e32 v8, 31, v5
	v_add_co_u32_e32 v4, vcc, v4, v8
	v_addc_co_u32_e32 v5, vcc, v5, v8, vcc
	v_xor_b32_e32 v10, v4, v8
	v_xor_b32_e32 v9, v5, v8
	v_mad_u64_u32 v[4:5], s[2:3], v10, v6, 0
	v_mul_hi_u32 v7, v10, v3
	v_add_co_u32_e32 v11, vcc, v7, v4
	v_addc_co_u32_e32 v12, vcc, 0, v5, vcc
	v_mad_u64_u32 v[4:5], s[2:3], v9, v6, 0
	v_mad_u64_u32 v[6:7], s[2:3], v9, v3, 0
	v_add_co_u32_e32 v3, vcc, v11, v6
	v_addc_co_u32_e32 v3, vcc, v12, v7, vcc
	v_addc_co_u32_e32 v5, vcc, 0, v5, vcc
	v_add_co_u32_e32 v3, vcc, v3, v4
	v_addc_co_u32_e32 v4, vcc, 0, v5, vcc
	v_mul_lo_u32 v6, s31, v3
	v_mul_lo_u32 v7, s30, v4
	v_mad_u64_u32 v[4:5], s[2:3], s30, v3, 0
	v_add3_u32 v5, v5, v7, v6
	v_sub_u32_e32 v6, v9, v5
	v_mov_b32_e32 v7, s31
	v_sub_co_u32_e32 v4, vcc, v10, v4
	v_subb_co_u32_e64 v6, s[2:3], v6, v7, vcc
	v_subrev_co_u32_e64 v7, s[2:3], s30, v4
	v_subbrev_co_u32_e64 v6, s[2:3], 0, v6, s[2:3]
	v_cmp_le_u32_e64 s[2:3], s31, v6
	v_subb_co_u32_e32 v5, vcc, v9, v5, vcc
	v_cndmask_b32_e64 v10, 0, -1, s[2:3]
	v_cmp_le_u32_e64 s[2:3], s30, v7
	v_cmp_le_u32_e32 vcc, s31, v5
	v_cndmask_b32_e64 v7, 0, -1, s[2:3]
	v_cmp_eq_u32_e64 s[2:3], s31, v6
	v_cndmask_b32_e64 v9, 0, -1, vcc
	v_cmp_le_u32_e32 vcc, s30, v4
	v_cndmask_b32_e64 v6, v10, v7, s[2:3]
	v_cndmask_b32_e64 v4, 0, -1, vcc
	v_cmp_eq_u32_e32 vcc, s31, v5
	v_add_co_u32_e64 v7, s[2:3], 2, v3
	v_add_co_u32_e64 v10, s[2:3], 1, v3
	v_cndmask_b32_e32 v4, v9, v4, vcc
	v_cmp_ne_u32_e32 vcc, 0, v6
	v_cndmask_b32_e32 v5, v10, v7, vcc
	v_cmp_ne_u32_e32 vcc, 0, v4
	v_cndmask_b32_e32 v3, v3, v5, vcc
	v_xor_b32_e32 v4, s28, v8
	v_xor_b32_e32 v3, v3, v4
	v_sub_co_u32_e32 v6, vcc, v3, v4
                                        ; implicit-def: $vgpr4_vgpr5
.LBB59_14:                              ;   in Loop: Header=BB59_4 Depth=1
	s_andn2_saveexec_b64 s[2:3], s[26:27]
	s_cbranch_execz .LBB59_2
; %bb.15:                               ;   in Loop: Header=BB59_4 Depth=1
	v_cvt_f32_u32_e32 v3, s33
	s_sub_i32 s26, 0, s33
	v_rcp_iflag_f32_e32 v3, v3
	v_mul_f32_e32 v3, 0x4f7ffffe, v3
	v_cvt_u32_f32_e32 v3, v3
	v_mul_lo_u32 v5, s26, v3
	v_mul_hi_u32 v5, v3, v5
	v_add_u32_e32 v3, v3, v5
	v_mul_hi_u32 v3, v4, v3
	v_mul_lo_u32 v5, v3, s33
	v_sub_u32_e32 v4, v4, v5
	v_add_u32_e32 v6, 1, v3
	v_subrev_u32_e32 v5, s33, v4
	v_cmp_le_u32_e32 vcc, s33, v4
	v_cndmask_b32_e32 v4, v4, v5, vcc
	v_cndmask_b32_e32 v3, v3, v6, vcc
	v_add_u32_e32 v5, 1, v3
	v_cmp_le_u32_e32 vcc, s33, v4
	v_cndmask_b32_e32 v6, v3, v5, vcc
	s_branch .LBB59_2
.LBB59_16:
	s_endpgm
	.section	.rodata,"a",@progbits
	.p2align	6, 0x0
	.amdhsa_kernel _ZN2at4cuda17kernelHistogram1DIdslLi1ELi2ELin1ELNS0_23CUDAHistogramMemoryTypeE1EZNS0_21CUDA_tensor_histogramIdsLb1EEEbNS_6TensorES4_S4_lNS_14AccumulateTypeIT0_Lb1EE4typeES8_NS0_13TensorArgTypeES9_S9_EUllE0_EEvNS0_6detail10TensorInfoIT_T1_EESF_NSC_IKS6_SE_EElS8_S8_SE_T6_
		.amdhsa_group_segment_fixed_size 0
		.amdhsa_private_segment_fixed_size 0
		.amdhsa_kernarg_size 1544
		.amdhsa_user_sgpr_count 6
		.amdhsa_user_sgpr_private_segment_buffer 1
		.amdhsa_user_sgpr_dispatch_ptr 0
		.amdhsa_user_sgpr_queue_ptr 0
		.amdhsa_user_sgpr_kernarg_segment_ptr 1
		.amdhsa_user_sgpr_dispatch_id 0
		.amdhsa_user_sgpr_flat_scratch_init 0
		.amdhsa_user_sgpr_kernarg_preload_length 0
		.amdhsa_user_sgpr_kernarg_preload_offset 0
		.amdhsa_user_sgpr_private_segment_size 0
		.amdhsa_uses_dynamic_stack 0
		.amdhsa_system_sgpr_private_segment_wavefront_offset 0
		.amdhsa_system_sgpr_workgroup_id_x 1
		.amdhsa_system_sgpr_workgroup_id_y 0
		.amdhsa_system_sgpr_workgroup_id_z 0
		.amdhsa_system_sgpr_workgroup_info 0
		.amdhsa_system_vgpr_workitem_id 0
		.amdhsa_next_free_vgpr 18
		.amdhsa_next_free_sgpr 41
		.amdhsa_accum_offset 20
		.amdhsa_reserve_vcc 1
		.amdhsa_reserve_flat_scratch 0
		.amdhsa_float_round_mode_32 0
		.amdhsa_float_round_mode_16_64 0
		.amdhsa_float_denorm_mode_32 3
		.amdhsa_float_denorm_mode_16_64 3
		.amdhsa_dx10_clamp 1
		.amdhsa_ieee_mode 1
		.amdhsa_fp16_overflow 0
		.amdhsa_tg_split 0
		.amdhsa_exception_fp_ieee_invalid_op 0
		.amdhsa_exception_fp_denorm_src 0
		.amdhsa_exception_fp_ieee_div_zero 0
		.amdhsa_exception_fp_ieee_overflow 0
		.amdhsa_exception_fp_ieee_underflow 0
		.amdhsa_exception_fp_ieee_inexact 0
		.amdhsa_exception_int_div_zero 0
	.end_amdhsa_kernel
	.section	.text._ZN2at4cuda17kernelHistogram1DIdslLi1ELi2ELin1ELNS0_23CUDAHistogramMemoryTypeE1EZNS0_21CUDA_tensor_histogramIdsLb1EEEbNS_6TensorES4_S4_lNS_14AccumulateTypeIT0_Lb1EE4typeES8_NS0_13TensorArgTypeES9_S9_EUllE0_EEvNS0_6detail10TensorInfoIT_T1_EESF_NSC_IKS6_SE_EElS8_S8_SE_T6_,"axG",@progbits,_ZN2at4cuda17kernelHistogram1DIdslLi1ELi2ELin1ELNS0_23CUDAHistogramMemoryTypeE1EZNS0_21CUDA_tensor_histogramIdsLb1EEEbNS_6TensorES4_S4_lNS_14AccumulateTypeIT0_Lb1EE4typeES8_NS0_13TensorArgTypeES9_S9_EUllE0_EEvNS0_6detail10TensorInfoIT_T1_EESF_NSC_IKS6_SE_EElS8_S8_SE_T6_,comdat
.Lfunc_end59:
	.size	_ZN2at4cuda17kernelHistogram1DIdslLi1ELi2ELin1ELNS0_23CUDAHistogramMemoryTypeE1EZNS0_21CUDA_tensor_histogramIdsLb1EEEbNS_6TensorES4_S4_lNS_14AccumulateTypeIT0_Lb1EE4typeES8_NS0_13TensorArgTypeES9_S9_EUllE0_EEvNS0_6detail10TensorInfoIT_T1_EESF_NSC_IKS6_SE_EElS8_S8_SE_T6_, .Lfunc_end59-_ZN2at4cuda17kernelHistogram1DIdslLi1ELi2ELin1ELNS0_23CUDAHistogramMemoryTypeE1EZNS0_21CUDA_tensor_histogramIdsLb1EEEbNS_6TensorES4_S4_lNS_14AccumulateTypeIT0_Lb1EE4typeES8_NS0_13TensorArgTypeES9_S9_EUllE0_EEvNS0_6detail10TensorInfoIT_T1_EESF_NSC_IKS6_SE_EElS8_S8_SE_T6_
                                        ; -- End function
	.section	.AMDGPU.csdata,"",@progbits
; Kernel info:
; codeLenInByte = 2232
; NumSgprs: 45
; NumVgprs: 18
; NumAgprs: 0
; TotalNumVgprs: 18
; ScratchSize: 0
; MemoryBound: 0
; FloatMode: 240
; IeeeMode: 1
; LDSByteSize: 0 bytes/workgroup (compile time only)
; SGPRBlocks: 5
; VGPRBlocks: 2
; NumSGPRsForWavesPerEU: 45
; NumVGPRsForWavesPerEU: 18
; AccumOffset: 20
; Occupancy: 8
; WaveLimiterHint : 1
; COMPUTE_PGM_RSRC2:SCRATCH_EN: 0
; COMPUTE_PGM_RSRC2:USER_SGPR: 6
; COMPUTE_PGM_RSRC2:TRAP_HANDLER: 0
; COMPUTE_PGM_RSRC2:TGID_X_EN: 1
; COMPUTE_PGM_RSRC2:TGID_Y_EN: 0
; COMPUTE_PGM_RSRC2:TGID_Z_EN: 0
; COMPUTE_PGM_RSRC2:TIDIG_COMP_CNT: 0
; COMPUTE_PGM_RSRC3_GFX90A:ACCUM_OFFSET: 4
; COMPUTE_PGM_RSRC3_GFX90A:TG_SPLIT: 0
	.section	.text._ZN2at4cuda17kernelHistogram1DIhhlLi1ELi2ELin1ELNS0_23CUDAHistogramMemoryTypeE0EZNS0_21CUDA_tensor_histogramIhhLb0EEEbNS_6TensorES4_S4_lNS_14AccumulateTypeIT0_Lb1EE4typeES8_NS0_13TensorArgTypeES9_S9_EUllE_EEvNS0_6detail10TensorInfoIT_T1_EESF_NSC_IKS6_SE_EElS8_S8_SE_T6_,"axG",@progbits,_ZN2at4cuda17kernelHistogram1DIhhlLi1ELi2ELin1ELNS0_23CUDAHistogramMemoryTypeE0EZNS0_21CUDA_tensor_histogramIhhLb0EEEbNS_6TensorES4_S4_lNS_14AccumulateTypeIT0_Lb1EE4typeES8_NS0_13TensorArgTypeES9_S9_EUllE_EEvNS0_6detail10TensorInfoIT_T1_EESF_NSC_IKS6_SE_EElS8_S8_SE_T6_,comdat
	.protected	_ZN2at4cuda17kernelHistogram1DIhhlLi1ELi2ELin1ELNS0_23CUDAHistogramMemoryTypeE0EZNS0_21CUDA_tensor_histogramIhhLb0EEEbNS_6TensorES4_S4_lNS_14AccumulateTypeIT0_Lb1EE4typeES8_NS0_13TensorArgTypeES9_S9_EUllE_EEvNS0_6detail10TensorInfoIT_T1_EESF_NSC_IKS6_SE_EElS8_S8_SE_T6_ ; -- Begin function _ZN2at4cuda17kernelHistogram1DIhhlLi1ELi2ELin1ELNS0_23CUDAHistogramMemoryTypeE0EZNS0_21CUDA_tensor_histogramIhhLb0EEEbNS_6TensorES4_S4_lNS_14AccumulateTypeIT0_Lb1EE4typeES8_NS0_13TensorArgTypeES9_S9_EUllE_EEvNS0_6detail10TensorInfoIT_T1_EESF_NSC_IKS6_SE_EElS8_S8_SE_T6_
	.globl	_ZN2at4cuda17kernelHistogram1DIhhlLi1ELi2ELin1ELNS0_23CUDAHistogramMemoryTypeE0EZNS0_21CUDA_tensor_histogramIhhLb0EEEbNS_6TensorES4_S4_lNS_14AccumulateTypeIT0_Lb1EE4typeES8_NS0_13TensorArgTypeES9_S9_EUllE_EEvNS0_6detail10TensorInfoIT_T1_EESF_NSC_IKS6_SE_EElS8_S8_SE_T6_
	.p2align	8
	.type	_ZN2at4cuda17kernelHistogram1DIhhlLi1ELi2ELin1ELNS0_23CUDAHistogramMemoryTypeE0EZNS0_21CUDA_tensor_histogramIhhLb0EEEbNS_6TensorES4_S4_lNS_14AccumulateTypeIT0_Lb1EE4typeES8_NS0_13TensorArgTypeES9_S9_EUllE_EEvNS0_6detail10TensorInfoIT_T1_EESF_NSC_IKS6_SE_EElS8_S8_SE_T6_,@function
_ZN2at4cuda17kernelHistogram1DIhhlLi1ELi2ELin1ELNS0_23CUDAHistogramMemoryTypeE0EZNS0_21CUDA_tensor_histogramIhhLb0EEEbNS_6TensorES4_S4_lNS_14AccumulateTypeIT0_Lb1EE4typeES8_NS0_13TensorArgTypeES9_S9_EUllE_EEvNS0_6detail10TensorInfoIT_T1_EESF_NSC_IKS6_SE_EElS8_S8_SE_T6_: ; @_ZN2at4cuda17kernelHistogram1DIhhlLi1ELi2ELin1ELNS0_23CUDAHistogramMemoryTypeE0EZNS0_21CUDA_tensor_histogramIhhLb0EEEbNS_6TensorES4_S4_lNS_14AccumulateTypeIT0_Lb1EE4typeES8_NS0_13TensorArgTypeES9_S9_EUllE_EEvNS0_6detail10TensorInfoIT_T1_EESF_NSC_IKS6_SE_EElS8_S8_SE_T6_
; %bb.0:
	s_load_dwordx4 s[16:19], s[4:5], 0x0
	s_load_dwordx2 s[22:23], s[4:5], 0x500
	s_load_dwordx8 s[8:15], s[4:5], 0x4e0
	v_mov_b32_e32 v1, 0
	s_add_u32 s2, s4, 0x6a0
	s_waitcnt lgkmcnt(0)
	v_cmp_gt_i64_e64 s[0:1], s[18:19], v[0:1]
	v_cmp_le_i64_e32 vcc, s[18:19], v[0:1]
	s_addc_u32 s3, s5, 0
                                        ; implicit-def: $sgpr28
                                        ; implicit-def: $sgpr7
	s_and_saveexec_b64 s[20:21], vcc
	s_xor_b64 s[20:21], exec, s[20:21]
	s_cbranch_execz .LBB60_2
; %bb.1:
	s_load_dword s28, s[2:3], 0xc
	s_waitcnt lgkmcnt(0)
	s_and_b32 s7, s28, 0xffff
.LBB60_2:
	s_or_saveexec_b64 s[26:27], s[20:21]
	s_load_dwordx2 s[20:21], s[4:5], 0xd0
	s_load_dwordx2 s[24:25], s[4:5], 0x5d0
	v_mov_b32_e32 v7, s28
	v_mov_b32_e32 v5, s7
	s_xor_b64 exec, exec, s[26:27]
	s_cbranch_execz .LBB60_6
; %bb.3:
	s_load_dword s7, s[2:3], 0xc
	s_mov_b32 s31, 0
	v_add_u32_e32 v4, 0, v0
	s_mov_b64 s[28:29], 0
	v_mov_b32_e32 v5, 0
	s_waitcnt lgkmcnt(0)
	s_and_b32 s30, s7, 0xffff
	v_mov_b32_e32 v6, s31
	v_pk_mov_b32 v[2:3], v[0:1], v[0:1] op_sel:[0,1]
.LBB60_4:                               ; =>This Inner Loop Header: Depth=1
	v_add_co_u32_e32 v2, vcc, s30, v2
	v_addc_co_u32_e32 v3, vcc, v3, v6, vcc
	v_cmp_le_i64_e32 vcc, s[18:19], v[2:3]
	ds_write_b8 v4, v5
	s_or_b64 s[28:29], vcc, s[28:29]
	v_add_u32_e32 v4, s30, v4
	s_andn2_b64 exec, exec, s[28:29]
	s_cbranch_execnz .LBB60_4
; %bb.5:
	s_or_b64 exec, exec, s[28:29]
	v_mov_b32_e32 v7, s7
	v_mov_b32_e32 v5, s30
.LBB60_6:
	s_or_b64 exec, exec, s[26:27]
	v_mad_u64_u32 v[2:3], s[6:7], s6, v5, v[0:1]
	v_mov_b32_e32 v4, 0
	v_mov_b32_e32 v3, v4
	v_cmp_gt_i64_e32 vcc, s[14:15], v[2:3]
	s_waitcnt lgkmcnt(0)
	s_barrier
	s_and_saveexec_b64 s[6:7], vcc
	s_cbranch_execz .LBB60_23
; %bb.7:
	s_load_dword s30, s[4:5], 0x4d8
	s_load_dwordx2 s[26:27], s[4:5], 0x410
	s_load_dwordx2 s[28:29], s[4:5], 0x340
	s_load_dword s31, s[2:3], 0x0
	s_add_u32 s34, s4, 0x340
	s_addc_u32 s35, s5, 0
	s_waitcnt lgkmcnt(0)
	s_cmp_gt_i32 s30, 1
	s_cselect_b64 s[2:3], -1, 0
	s_sub_u32 s33, s12, s10
	s_subb_u32 s48, s13, s11
	v_mul_lo_u32 v6, s31, v5
	s_mov_b32 s31, 0
	s_add_i32 s49, s30, 1
	s_add_i32 s30, s30, -1
	s_lshl_b64 s[4:5], s[30:31], 3
	s_add_u32 s4, s4, s34
	s_addc_u32 s5, s5, s35
	s_add_u32 s34, s4, 8
	v_cndmask_b32_e64 v5, 0, 1, s[2:3]
	s_addc_u32 s35, s5, 0
	s_mov_b64 s[36:37], 0
	v_cmp_ne_u32_e64 s[2:3], 1, v5
	s_movk_i32 s30, 0xff
	s_branch .LBB60_9
.LBB60_8:                               ;   in Loop: Header=BB60_9 Depth=1
	s_or_b64 exec, exec, s[38:39]
	v_add_co_u32_e32 v2, vcc, v2, v6
	v_addc_co_u32_e32 v3, vcc, 0, v3, vcc
	v_cmp_le_i64_e32 vcc, s[14:15], v[2:3]
	s_or_b64 s[36:37], vcc, s[36:37]
	s_andn2_b64 exec, exec, s[36:37]
	s_cbranch_execz .LBB60_23
.LBB60_9:                               ; =>This Loop Header: Depth=1
                                        ;     Child Loop BB60_10 Depth 2
                                        ;     Child Loop BB60_22 Depth 2
	s_and_b64 vcc, exec, s[2:3]
	v_pk_mov_b32 v[8:9], 0, 0
	s_mov_b64 s[38:39], s[34:35]
	s_mov_b32 s50, s49
	v_pk_mov_b32 v[10:11], v[2:3], v[2:3] op_sel:[0,1]
	v_pk_mov_b32 v[12:13], v[2:3], v[2:3] op_sel:[0,1]
	s_cbranch_vccnz .LBB60_16
.LBB60_10:                              ;   Parent Loop BB60_9 Depth=1
                                        ; =>  This Inner Loop Header: Depth=2
	s_load_dwordx2 s[40:41], s[38:39], 0x0
                                        ; implicit-def: $vgpr12_vgpr13
	s_waitcnt lgkmcnt(0)
	v_or_b32_e32 v5, s41, v11
	v_cmp_ne_u64_e32 vcc, 0, v[4:5]
	s_and_saveexec_b64 s[4:5], vcc
	s_xor_b64 s[42:43], exec, s[4:5]
	s_cbranch_execz .LBB60_12
; %bb.11:                               ;   in Loop: Header=BB60_10 Depth=2
	s_ashr_i32 s44, s41, 31
	s_add_u32 s4, s40, s44
	s_mov_b32 s45, s44
	s_addc_u32 s5, s41, s44
	s_xor_b64 s[46:47], s[4:5], s[44:45]
	v_cvt_f32_u32_e32 v5, s46
	v_cvt_f32_u32_e32 v12, s47
	s_sub_u32 s4, 0, s46
	s_subb_u32 s5, 0, s47
	v_mac_f32_e32 v5, 0x4f800000, v12
	v_rcp_f32_e32 v5, v5
	v_mul_f32_e32 v5, 0x5f7ffffc, v5
	v_mul_f32_e32 v12, 0x2f800000, v5
	v_trunc_f32_e32 v12, v12
	v_mac_f32_e32 v5, 0xcf800000, v12
	v_cvt_u32_f32_e32 v12, v12
	v_cvt_u32_f32_e32 v5, v5
	v_mul_lo_u32 v13, s4, v12
	v_mul_hi_u32 v15, s4, v5
	v_mul_lo_u32 v14, s5, v5
	v_add_u32_e32 v13, v15, v13
	v_mul_lo_u32 v16, s4, v5
	v_add_u32_e32 v13, v13, v14
	v_mul_lo_u32 v15, v5, v13
	v_mul_hi_u32 v17, v5, v16
	v_mul_hi_u32 v14, v5, v13
	v_add_co_u32_e32 v15, vcc, v17, v15
	v_addc_co_u32_e32 v14, vcc, 0, v14, vcc
	v_mul_hi_u32 v18, v12, v16
	v_mul_lo_u32 v16, v12, v16
	v_add_co_u32_e32 v15, vcc, v15, v16
	v_mul_hi_u32 v17, v12, v13
	v_addc_co_u32_e32 v14, vcc, v14, v18, vcc
	v_addc_co_u32_e32 v15, vcc, 0, v17, vcc
	v_mul_lo_u32 v13, v12, v13
	v_add_co_u32_e32 v13, vcc, v14, v13
	v_addc_co_u32_e32 v14, vcc, 0, v15, vcc
	v_add_co_u32_e32 v5, vcc, v5, v13
	v_addc_co_u32_e32 v12, vcc, v12, v14, vcc
	v_mul_lo_u32 v13, s4, v12
	v_mul_hi_u32 v14, s4, v5
	v_add_u32_e32 v13, v14, v13
	v_mul_lo_u32 v14, s5, v5
	v_add_u32_e32 v13, v13, v14
	v_mul_lo_u32 v15, s4, v5
	v_mul_hi_u32 v16, v12, v15
	v_mul_lo_u32 v17, v12, v15
	v_mul_lo_u32 v19, v5, v13
	v_mul_hi_u32 v15, v5, v15
	v_mul_hi_u32 v18, v5, v13
	v_add_co_u32_e32 v15, vcc, v15, v19
	v_addc_co_u32_e32 v18, vcc, 0, v18, vcc
	v_add_co_u32_e32 v15, vcc, v15, v17
	v_mul_hi_u32 v14, v12, v13
	v_addc_co_u32_e32 v15, vcc, v18, v16, vcc
	v_addc_co_u32_e32 v14, vcc, 0, v14, vcc
	v_mul_lo_u32 v13, v12, v13
	v_add_co_u32_e32 v13, vcc, v15, v13
	v_addc_co_u32_e32 v14, vcc, 0, v14, vcc
	v_add_co_u32_e32 v5, vcc, v5, v13
	v_addc_co_u32_e32 v14, vcc, v12, v14, vcc
	v_ashrrev_i32_e32 v16, 31, v11
	v_add_co_u32_e32 v12, vcc, v10, v16
	v_addc_co_u32_e32 v13, vcc, v11, v16, vcc
	v_xor_b32_e32 v18, v12, v16
	v_xor_b32_e32 v17, v13, v16
	v_mad_u64_u32 v[12:13], s[4:5], v18, v14, 0
	v_mul_hi_u32 v15, v18, v5
	v_add_co_u32_e32 v19, vcc, v15, v12
	v_addc_co_u32_e32 v20, vcc, 0, v13, vcc
	v_mad_u64_u32 v[12:13], s[4:5], v17, v14, 0
	v_mad_u64_u32 v[14:15], s[4:5], v17, v5, 0
	v_add_co_u32_e32 v5, vcc, v19, v14
	v_addc_co_u32_e32 v5, vcc, v20, v15, vcc
	v_addc_co_u32_e32 v13, vcc, 0, v13, vcc
	v_add_co_u32_e32 v5, vcc, v5, v12
	v_addc_co_u32_e32 v14, vcc, 0, v13, vcc
	v_mul_lo_u32 v15, s47, v5
	v_mul_lo_u32 v19, s46, v14
	v_mad_u64_u32 v[12:13], s[4:5], s46, v5, 0
	v_add3_u32 v13, v13, v19, v15
	v_sub_u32_e32 v15, v17, v13
	v_mov_b32_e32 v19, s47
	v_sub_co_u32_e32 v12, vcc, v18, v12
	v_subb_co_u32_e64 v15, s[4:5], v15, v19, vcc
	v_subrev_co_u32_e64 v18, s[4:5], s46, v12
	v_subbrev_co_u32_e64 v15, s[4:5], 0, v15, s[4:5]
	v_cmp_le_u32_e64 s[4:5], s47, v15
	v_cndmask_b32_e64 v19, 0, -1, s[4:5]
	v_cmp_le_u32_e64 s[4:5], s46, v18
	v_cndmask_b32_e64 v18, 0, -1, s[4:5]
	v_cmp_eq_u32_e64 s[4:5], s47, v15
	v_cndmask_b32_e64 v15, v19, v18, s[4:5]
	v_add_co_u32_e64 v18, s[4:5], 2, v5
	v_subb_co_u32_e32 v13, vcc, v17, v13, vcc
	v_addc_co_u32_e64 v19, s[4:5], 0, v14, s[4:5]
	v_cmp_le_u32_e32 vcc, s47, v13
	v_add_co_u32_e64 v20, s[4:5], 1, v5
	v_cndmask_b32_e64 v17, 0, -1, vcc
	v_cmp_le_u32_e32 vcc, s46, v12
	v_addc_co_u32_e64 v21, s[4:5], 0, v14, s[4:5]
	v_cndmask_b32_e64 v12, 0, -1, vcc
	v_cmp_eq_u32_e32 vcc, s47, v13
	v_cmp_ne_u32_e64 s[4:5], 0, v15
	v_cndmask_b32_e32 v12, v17, v12, vcc
	v_cmp_ne_u32_e32 vcc, 0, v12
	v_cndmask_b32_e64 v13, v20, v18, s[4:5]
	v_cndmask_b32_e64 v15, v21, v19, s[4:5]
	v_cndmask_b32_e32 v5, v5, v13, vcc
	v_xor_b32_e32 v13, s44, v16
	v_cndmask_b32_e32 v12, v14, v15, vcc
	v_xor_b32_e32 v5, v5, v13
	v_xor_b32_e32 v14, v12, v13
	v_sub_co_u32_e32 v12, vcc, v5, v13
	v_subb_co_u32_e32 v13, vcc, v14, v13, vcc
.LBB60_12:                              ;   in Loop: Header=BB60_10 Depth=2
	s_andn2_saveexec_b64 s[4:5], s[42:43]
	s_cbranch_execz .LBB60_14
; %bb.13:                               ;   in Loop: Header=BB60_10 Depth=2
	v_cvt_f32_u32_e32 v5, s40
	s_sub_i32 s42, 0, s40
	v_rcp_iflag_f32_e32 v5, v5
	v_mul_f32_e32 v5, 0x4f7ffffe, v5
	v_cvt_u32_f32_e32 v5, v5
	v_mul_lo_u32 v12, s42, v5
	v_mul_hi_u32 v12, v5, v12
	v_add_u32_e32 v5, v5, v12
	v_mul_hi_u32 v5, v10, v5
	v_mul_lo_u32 v12, v5, s40
	v_sub_u32_e32 v12, v10, v12
	v_add_u32_e32 v13, 1, v5
	v_subrev_u32_e32 v14, s40, v12
	v_cmp_le_u32_e32 vcc, s40, v12
	v_cndmask_b32_e32 v12, v12, v14, vcc
	v_cndmask_b32_e32 v5, v5, v13, vcc
	v_add_u32_e32 v13, 1, v5
	v_cmp_le_u32_e32 vcc, s40, v12
	v_cndmask_b32_e32 v12, v5, v13, vcc
	v_mov_b32_e32 v13, v4
.LBB60_14:                              ;   in Loop: Header=BB60_10 Depth=2
	s_or_b64 exec, exec, s[4:5]
	v_mad_u64_u32 v[14:15], s[4:5], v12, s40, 0
	s_load_dwordx2 s[4:5], s[38:39], 0xc8
	v_mul_lo_u32 v5, v13, s40
	v_mul_lo_u32 v16, v12, s41
	v_add3_u32 v5, v15, v16, v5
	v_sub_co_u32_e32 v10, vcc, v10, v14
	s_add_i32 s50, s50, -1
	v_subb_co_u32_e32 v5, vcc, v11, v5, vcc
	s_add_u32 s38, s38, -8
	s_waitcnt lgkmcnt(0)
	v_mul_lo_u32 v5, s4, v5
	v_mul_lo_u32 v11, s5, v10
	v_mad_u64_u32 v[8:9], s[4:5], s4, v10, v[8:9]
	s_addc_u32 s39, s39, -1
	s_cmp_gt_u32 s50, 2
	v_add3_u32 v9, v11, v9, v5
	s_cbranch_scc0 .LBB60_16
; %bb.15:                               ;   in Loop: Header=BB60_10 Depth=2
	v_pk_mov_b32 v[10:11], v[12:13], v[12:13] op_sel:[0,1]
	s_branch .LBB60_10
.LBB60_16:                              ;   in Loop: Header=BB60_9 Depth=1
	v_pk_mov_b32 v[10:11], s[28:29], s[28:29] op_sel:[0,1]
	v_mad_u64_u32 v[10:11], s[4:5], s26, v12, v[10:11]
	v_mul_lo_u32 v5, s26, v13
	v_mul_lo_u32 v12, s27, v12
	v_add3_u32 v5, v12, v11, v5
	v_add_co_u32_e32 v8, vcc, v10, v8
	v_addc_co_u32_e32 v9, vcc, v5, v9, vcc
	global_load_ubyte v5, v[8:9], off
	v_mov_b32_e32 v9, s31
	s_waitcnt vmcnt(0)
	v_and_b32_e32 v8, 0xffff, v5
	v_cmp_le_i64_e32 vcc, s[10:11], v[8:9]
	v_cmp_ge_i64_e64 s[4:5], s[12:13], v[8:9]
	s_and_b64 s[4:5], vcc, s[4:5]
	s_and_saveexec_b64 s[38:39], s[4:5]
	s_cbranch_execz .LBB60_8
; %bb.17:                               ;   in Loop: Header=BB60_9 Depth=1
	v_mov_b32_e32 v5, s11
	v_subrev_co_u32_e32 v8, vcc, s10, v8
	v_subb_co_u32_e32 v5, vcc, 0, v5, vcc
	v_mul_lo_u32 v5, v5, s8
	v_mul_lo_u32 v10, v8, s9
	v_mad_u64_u32 v[8:9], s[4:5], v8, s8, 0
	v_add3_u32 v9, v9, v10, v5
	v_or_b32_e32 v5, s48, v9
	v_cmp_ne_u64_e32 vcc, 0, v[4:5]
                                        ; implicit-def: $vgpr10_vgpr11
	s_and_saveexec_b64 s[4:5], vcc
	s_xor_b64 s[40:41], exec, s[4:5]
	s_cbranch_execz .LBB60_19
; %bb.18:                               ;   in Loop: Header=BB60_9 Depth=1
	s_ashr_i32 s42, s48, 31
	s_add_u32 s4, s33, s42
	s_mov_b32 s43, s42
	s_addc_u32 s5, s48, s42
	s_xor_b64 s[44:45], s[4:5], s[42:43]
	v_cvt_f32_u32_e32 v5, s44
	v_cvt_f32_u32_e32 v10, s45
	s_sub_u32 s4, 0, s44
	s_subb_u32 s5, 0, s45
	v_mac_f32_e32 v5, 0x4f800000, v10
	v_rcp_f32_e32 v5, v5
	v_mul_f32_e32 v5, 0x5f7ffffc, v5
	v_mul_f32_e32 v10, 0x2f800000, v5
	v_trunc_f32_e32 v10, v10
	v_mac_f32_e32 v5, 0xcf800000, v10
	v_cvt_u32_f32_e32 v10, v10
	v_cvt_u32_f32_e32 v5, v5
	v_mul_lo_u32 v11, s4, v10
	v_mul_hi_u32 v13, s4, v5
	v_mul_lo_u32 v12, s5, v5
	v_add_u32_e32 v11, v13, v11
	v_mul_lo_u32 v14, s4, v5
	v_add_u32_e32 v11, v11, v12
	v_mul_lo_u32 v13, v5, v11
	v_mul_hi_u32 v15, v5, v14
	v_mul_hi_u32 v12, v5, v11
	v_add_co_u32_e32 v13, vcc, v15, v13
	v_addc_co_u32_e32 v12, vcc, 0, v12, vcc
	v_mul_hi_u32 v16, v10, v14
	v_mul_lo_u32 v14, v10, v14
	v_add_co_u32_e32 v13, vcc, v13, v14
	v_mul_hi_u32 v15, v10, v11
	v_addc_co_u32_e32 v12, vcc, v12, v16, vcc
	v_addc_co_u32_e32 v13, vcc, 0, v15, vcc
	v_mul_lo_u32 v11, v10, v11
	v_add_co_u32_e32 v11, vcc, v12, v11
	v_addc_co_u32_e32 v12, vcc, 0, v13, vcc
	v_add_co_u32_e32 v5, vcc, v5, v11
	v_addc_co_u32_e32 v10, vcc, v10, v12, vcc
	v_mul_lo_u32 v11, s4, v10
	v_mul_hi_u32 v12, s4, v5
	v_add_u32_e32 v11, v12, v11
	v_mul_lo_u32 v12, s5, v5
	v_add_u32_e32 v11, v11, v12
	v_mul_lo_u32 v13, s4, v5
	v_mul_hi_u32 v14, v10, v13
	v_mul_lo_u32 v15, v10, v13
	v_mul_lo_u32 v17, v5, v11
	v_mul_hi_u32 v13, v5, v13
	v_mul_hi_u32 v16, v5, v11
	v_add_co_u32_e32 v13, vcc, v13, v17
	v_addc_co_u32_e32 v16, vcc, 0, v16, vcc
	v_add_co_u32_e32 v13, vcc, v13, v15
	v_mul_hi_u32 v12, v10, v11
	v_addc_co_u32_e32 v13, vcc, v16, v14, vcc
	v_addc_co_u32_e32 v12, vcc, 0, v12, vcc
	v_mul_lo_u32 v11, v10, v11
	v_add_co_u32_e32 v11, vcc, v13, v11
	v_addc_co_u32_e32 v12, vcc, 0, v12, vcc
	v_add_co_u32_e32 v5, vcc, v5, v11
	v_addc_co_u32_e32 v10, vcc, v10, v12, vcc
	v_ashrrev_i32_e32 v12, 31, v9
	v_add_co_u32_e32 v8, vcc, v8, v12
	v_addc_co_u32_e32 v9, vcc, v9, v12, vcc
	v_xor_b32_e32 v14, v8, v12
	v_xor_b32_e32 v13, v9, v12
	v_mad_u64_u32 v[8:9], s[4:5], v14, v10, 0
	v_mul_hi_u32 v11, v14, v5
	v_add_co_u32_e32 v15, vcc, v11, v8
	v_addc_co_u32_e32 v16, vcc, 0, v9, vcc
	v_mad_u64_u32 v[8:9], s[4:5], v13, v10, 0
	v_mad_u64_u32 v[10:11], s[4:5], v13, v5, 0
	v_add_co_u32_e32 v5, vcc, v15, v10
	v_addc_co_u32_e32 v5, vcc, v16, v11, vcc
	v_addc_co_u32_e32 v9, vcc, 0, v9, vcc
	v_add_co_u32_e32 v5, vcc, v5, v8
	v_addc_co_u32_e32 v8, vcc, 0, v9, vcc
	v_mul_lo_u32 v10, s45, v5
	v_mul_lo_u32 v11, s44, v8
	v_mad_u64_u32 v[8:9], s[4:5], s44, v5, 0
	v_add3_u32 v9, v9, v11, v10
	v_sub_u32_e32 v10, v13, v9
	v_mov_b32_e32 v11, s45
	v_sub_co_u32_e32 v8, vcc, v14, v8
	v_subb_co_u32_e64 v10, s[4:5], v10, v11, vcc
	v_subrev_co_u32_e64 v11, s[4:5], s44, v8
	v_subbrev_co_u32_e64 v10, s[4:5], 0, v10, s[4:5]
	v_cmp_le_u32_e64 s[4:5], s45, v10
	v_subb_co_u32_e32 v9, vcc, v13, v9, vcc
	v_cndmask_b32_e64 v14, 0, -1, s[4:5]
	v_cmp_le_u32_e64 s[4:5], s44, v11
	v_cmp_le_u32_e32 vcc, s45, v9
	v_cndmask_b32_e64 v11, 0, -1, s[4:5]
	v_cmp_eq_u32_e64 s[4:5], s45, v10
	v_cndmask_b32_e64 v13, 0, -1, vcc
	v_cmp_le_u32_e32 vcc, s44, v8
	v_cndmask_b32_e64 v10, v14, v11, s[4:5]
	v_cndmask_b32_e64 v8, 0, -1, vcc
	v_cmp_eq_u32_e32 vcc, s45, v9
	v_add_co_u32_e64 v11, s[4:5], 2, v5
	v_add_co_u32_e64 v14, s[4:5], 1, v5
	v_cndmask_b32_e32 v8, v13, v8, vcc
	v_cmp_ne_u32_e32 vcc, 0, v10
	v_cndmask_b32_e32 v9, v14, v11, vcc
	v_cmp_ne_u32_e32 vcc, 0, v8
	v_cndmask_b32_e32 v5, v5, v9, vcc
	v_xor_b32_e32 v8, s42, v12
	v_xor_b32_e32 v5, v5, v8
	v_sub_co_u32_e32 v10, vcc, v5, v8
                                        ; implicit-def: $vgpr8_vgpr9
.LBB60_19:                              ;   in Loop: Header=BB60_9 Depth=1
	s_andn2_saveexec_b64 s[4:5], s[40:41]
	s_cbranch_execz .LBB60_21
; %bb.20:                               ;   in Loop: Header=BB60_9 Depth=1
	v_cvt_f32_u32_e32 v5, s33
	s_sub_i32 s40, 0, s33
	v_rcp_iflag_f32_e32 v5, v5
	v_mul_f32_e32 v5, 0x4f7ffffe, v5
	v_cvt_u32_f32_e32 v5, v5
	v_mul_lo_u32 v9, s40, v5
	v_mul_hi_u32 v9, v5, v9
	v_add_u32_e32 v5, v5, v9
	v_mul_hi_u32 v5, v8, v5
	v_mul_lo_u32 v9, v5, s33
	v_sub_u32_e32 v8, v8, v9
	v_add_u32_e32 v10, 1, v5
	v_subrev_u32_e32 v9, s33, v8
	v_cmp_le_u32_e32 vcc, s33, v8
	v_cndmask_b32_e32 v8, v8, v9, vcc
	v_cndmask_b32_e32 v5, v5, v10, vcc
	v_add_u32_e32 v9, 1, v5
	v_cmp_le_u32_e32 vcc, s33, v8
	v_cndmask_b32_e32 v10, v5, v9, vcc
.LBB60_21:                              ;   in Loop: Header=BB60_9 Depth=1
	s_or_b64 exec, exec, s[4:5]
	v_pk_mov_b32 v[8:9], s[22:23], s[22:23] op_sel:[0,1]
	v_mad_u64_u32 v[8:9], s[4:5], v2, s24, v[8:9]
	v_mul_lo_u32 v5, v2, s25
	v_mul_lo_u32 v11, v3, s24
	v_add3_u32 v9, v11, v9, v5
	global_load_ubyte v5, v[8:9], off
	v_ashrrev_i32_e32 v11, 31, v10
	v_cmp_eq_u64_e32 vcc, s[8:9], v[10:11]
	v_subbrev_co_u32_e32 v8, vcc, 0, v10, vcc
	v_add_u32_e32 v11, 0, v8
	v_and_b32_e32 v9, -4, v11
	ds_read_b32 v10, v9
	v_and_b32_e32 v8, 3, v11
	v_sub_u32_e32 v12, 0, v8
	v_lshlrev_b32_e32 v8, 3, v8
	v_lshlrev_b32_e64 v9, v8, s30
	v_not_b32_e32 v9, v9
	s_mov_b64 s[4:5], 0
	v_add_u32_e32 v11, v11, v12
.LBB60_22:                              ;   Parent Loop BB60_9 Depth=1
                                        ; =>  This Inner Loop Header: Depth=2
	s_waitcnt lgkmcnt(0)
	v_lshrrev_b32_e32 v12, v8, v10
	s_waitcnt vmcnt(0)
	v_add_u16_e32 v12, v5, v12
	v_and_b32_e32 v13, v10, v9
	v_and_b32_e32 v12, 0xff, v12
	v_lshl_or_b32 v12, v12, v8, v13
	ds_cmpst_rtn_b32 v12, v11, v10, v12
	s_waitcnt lgkmcnt(0)
	v_cmp_eq_u32_e32 vcc, v10, v12
	s_or_b64 s[4:5], vcc, s[4:5]
	v_mov_b32_e32 v10, v12
	s_andn2_b64 exec, exec, s[4:5]
	s_cbranch_execnz .LBB60_22
	s_branch .LBB60_8
.LBB60_23:
	s_or_b64 exec, exec, s[6:7]
; %bb.24:
	s_barrier
	s_and_saveexec_b64 s[2:3], s[0:1]
	s_cbranch_execz .LBB60_29
; %bb.25:
	v_and_b32_e32 v2, 0xffff, v7
	s_mov_b64 s[0:1], 0
	v_pk_mov_b32 v[4:5], s[16:17], s[16:17] op_sel:[0,1]
	s_movk_i32 s4, 0xff
.LBB60_26:                              ; =>This Loop Header: Depth=1
                                        ;     Child Loop BB60_27 Depth 2
	v_mad_u64_u32 v[8:9], s[2:3], v0, s20, v[4:5]
	v_mul_lo_u32 v3, v0, s21
	v_mul_lo_u32 v6, v1, s20
	v_add3_u32 v7, v6, v9, v3
	v_and_b32_e32 v6, -4, v8
	global_load_dword v9, v[6:7], off
	v_add_u32_e32 v3, 0, v0
	ds_read_u8 v3, v3
	v_and_b32_e32 v8, 3, v8
	v_lshlrev_b32_e32 v10, 3, v8
	v_lshlrev_b32_e64 v8, v10, s4
	v_not_b32_e32 v11, v8
	s_mov_b64 s[2:3], 0
.LBB60_27:                              ;   Parent Loop BB60_26 Depth=1
                                        ; =>  This Inner Loop Header: Depth=2
	s_waitcnt vmcnt(0)
	v_lshrrev_b32_e32 v8, v10, v9
	s_waitcnt lgkmcnt(0)
	v_add_u16_e32 v8, v3, v8
	v_and_b32_e32 v12, v9, v11
	v_and_b32_e32 v8, 0xff, v8
	v_lshl_or_b32 v8, v8, v10, v12
	global_atomic_cmpswap v8, v[6:7], v[8:9], off glc
	s_waitcnt vmcnt(0)
	v_cmp_eq_u32_e32 vcc, v9, v8
	s_or_b64 s[2:3], vcc, s[2:3]
	v_mov_b32_e32 v9, v8
	s_andn2_b64 exec, exec, s[2:3]
	s_cbranch_execnz .LBB60_27
; %bb.28:                               ;   in Loop: Header=BB60_26 Depth=1
	s_or_b64 exec, exec, s[2:3]
	v_add_co_u32_e32 v0, vcc, v0, v2
	v_addc_co_u32_e32 v1, vcc, 0, v1, vcc
	v_cmp_le_i64_e32 vcc, s[18:19], v[0:1]
	s_or_b64 s[0:1], vcc, s[0:1]
	s_andn2_b64 exec, exec, s[0:1]
	s_cbranch_execnz .LBB60_26
.LBB60_29:
	s_endpgm
	.section	.rodata,"a",@progbits
	.p2align	6, 0x0
	.amdhsa_kernel _ZN2at4cuda17kernelHistogram1DIhhlLi1ELi2ELin1ELNS0_23CUDAHistogramMemoryTypeE0EZNS0_21CUDA_tensor_histogramIhhLb0EEEbNS_6TensorES4_S4_lNS_14AccumulateTypeIT0_Lb1EE4typeES8_NS0_13TensorArgTypeES9_S9_EUllE_EEvNS0_6detail10TensorInfoIT_T1_EESF_NSC_IKS6_SE_EElS8_S8_SE_T6_
		.amdhsa_group_segment_fixed_size 0
		.amdhsa_private_segment_fixed_size 0
		.amdhsa_kernarg_size 1952
		.amdhsa_user_sgpr_count 6
		.amdhsa_user_sgpr_private_segment_buffer 1
		.amdhsa_user_sgpr_dispatch_ptr 0
		.amdhsa_user_sgpr_queue_ptr 0
		.amdhsa_user_sgpr_kernarg_segment_ptr 1
		.amdhsa_user_sgpr_dispatch_id 0
		.amdhsa_user_sgpr_flat_scratch_init 0
		.amdhsa_user_sgpr_kernarg_preload_length 0
		.amdhsa_user_sgpr_kernarg_preload_offset 0
		.amdhsa_user_sgpr_private_segment_size 0
		.amdhsa_uses_dynamic_stack 0
		.amdhsa_system_sgpr_private_segment_wavefront_offset 0
		.amdhsa_system_sgpr_workgroup_id_x 1
		.amdhsa_system_sgpr_workgroup_id_y 0
		.amdhsa_system_sgpr_workgroup_id_z 0
		.amdhsa_system_sgpr_workgroup_info 0
		.amdhsa_system_vgpr_workitem_id 0
		.amdhsa_next_free_vgpr 22
		.amdhsa_next_free_sgpr 51
		.amdhsa_accum_offset 24
		.amdhsa_reserve_vcc 1
		.amdhsa_reserve_flat_scratch 0
		.amdhsa_float_round_mode_32 0
		.amdhsa_float_round_mode_16_64 0
		.amdhsa_float_denorm_mode_32 3
		.amdhsa_float_denorm_mode_16_64 3
		.amdhsa_dx10_clamp 1
		.amdhsa_ieee_mode 1
		.amdhsa_fp16_overflow 0
		.amdhsa_tg_split 0
		.amdhsa_exception_fp_ieee_invalid_op 0
		.amdhsa_exception_fp_denorm_src 0
		.amdhsa_exception_fp_ieee_div_zero 0
		.amdhsa_exception_fp_ieee_overflow 0
		.amdhsa_exception_fp_ieee_underflow 0
		.amdhsa_exception_fp_ieee_inexact 0
		.amdhsa_exception_int_div_zero 0
	.end_amdhsa_kernel
	.section	.text._ZN2at4cuda17kernelHistogram1DIhhlLi1ELi2ELin1ELNS0_23CUDAHistogramMemoryTypeE0EZNS0_21CUDA_tensor_histogramIhhLb0EEEbNS_6TensorES4_S4_lNS_14AccumulateTypeIT0_Lb1EE4typeES8_NS0_13TensorArgTypeES9_S9_EUllE_EEvNS0_6detail10TensorInfoIT_T1_EESF_NSC_IKS6_SE_EElS8_S8_SE_T6_,"axG",@progbits,_ZN2at4cuda17kernelHistogram1DIhhlLi1ELi2ELin1ELNS0_23CUDAHistogramMemoryTypeE0EZNS0_21CUDA_tensor_histogramIhhLb0EEEbNS_6TensorES4_S4_lNS_14AccumulateTypeIT0_Lb1EE4typeES8_NS0_13TensorArgTypeES9_S9_EUllE_EEvNS0_6detail10TensorInfoIT_T1_EESF_NSC_IKS6_SE_EElS8_S8_SE_T6_,comdat
.Lfunc_end60:
	.size	_ZN2at4cuda17kernelHistogram1DIhhlLi1ELi2ELin1ELNS0_23CUDAHistogramMemoryTypeE0EZNS0_21CUDA_tensor_histogramIhhLb0EEEbNS_6TensorES4_S4_lNS_14AccumulateTypeIT0_Lb1EE4typeES8_NS0_13TensorArgTypeES9_S9_EUllE_EEvNS0_6detail10TensorInfoIT_T1_EESF_NSC_IKS6_SE_EElS8_S8_SE_T6_, .Lfunc_end60-_ZN2at4cuda17kernelHistogram1DIhhlLi1ELi2ELin1ELNS0_23CUDAHistogramMemoryTypeE0EZNS0_21CUDA_tensor_histogramIhhLb0EEEbNS_6TensorES4_S4_lNS_14AccumulateTypeIT0_Lb1EE4typeES8_NS0_13TensorArgTypeES9_S9_EUllE_EEvNS0_6detail10TensorInfoIT_T1_EESF_NSC_IKS6_SE_EElS8_S8_SE_T6_
                                        ; -- End function
	.section	.AMDGPU.csdata,"",@progbits
; Kernel info:
; codeLenInByte = 2680
; NumSgprs: 55
; NumVgprs: 22
; NumAgprs: 0
; TotalNumVgprs: 22
; ScratchSize: 0
; MemoryBound: 0
; FloatMode: 240
; IeeeMode: 1
; LDSByteSize: 0 bytes/workgroup (compile time only)
; SGPRBlocks: 6
; VGPRBlocks: 2
; NumSGPRsForWavesPerEU: 55
; NumVGPRsForWavesPerEU: 22
; AccumOffset: 24
; Occupancy: 8
; WaveLimiterHint : 1
; COMPUTE_PGM_RSRC2:SCRATCH_EN: 0
; COMPUTE_PGM_RSRC2:USER_SGPR: 6
; COMPUTE_PGM_RSRC2:TRAP_HANDLER: 0
; COMPUTE_PGM_RSRC2:TGID_X_EN: 1
; COMPUTE_PGM_RSRC2:TGID_Y_EN: 0
; COMPUTE_PGM_RSRC2:TGID_Z_EN: 0
; COMPUTE_PGM_RSRC2:TIDIG_COMP_CNT: 0
; COMPUTE_PGM_RSRC3_GFX90A:ACCUM_OFFSET: 5
; COMPUTE_PGM_RSRC3_GFX90A:TG_SPLIT: 0
	.section	.text._ZN2at4cuda17kernelHistogram1DIhhlLi1ELi2ELin1ELNS0_23CUDAHistogramMemoryTypeE1EZNS0_21CUDA_tensor_histogramIhhLb0EEEbNS_6TensorES4_S4_lNS_14AccumulateTypeIT0_Lb1EE4typeES8_NS0_13TensorArgTypeES9_S9_EUllE_EEvNS0_6detail10TensorInfoIT_T1_EESF_NSC_IKS6_SE_EElS8_S8_SE_T6_,"axG",@progbits,_ZN2at4cuda17kernelHistogram1DIhhlLi1ELi2ELin1ELNS0_23CUDAHistogramMemoryTypeE1EZNS0_21CUDA_tensor_histogramIhhLb0EEEbNS_6TensorES4_S4_lNS_14AccumulateTypeIT0_Lb1EE4typeES8_NS0_13TensorArgTypeES9_S9_EUllE_EEvNS0_6detail10TensorInfoIT_T1_EESF_NSC_IKS6_SE_EElS8_S8_SE_T6_,comdat
	.protected	_ZN2at4cuda17kernelHistogram1DIhhlLi1ELi2ELin1ELNS0_23CUDAHistogramMemoryTypeE1EZNS0_21CUDA_tensor_histogramIhhLb0EEEbNS_6TensorES4_S4_lNS_14AccumulateTypeIT0_Lb1EE4typeES8_NS0_13TensorArgTypeES9_S9_EUllE_EEvNS0_6detail10TensorInfoIT_T1_EESF_NSC_IKS6_SE_EElS8_S8_SE_T6_ ; -- Begin function _ZN2at4cuda17kernelHistogram1DIhhlLi1ELi2ELin1ELNS0_23CUDAHistogramMemoryTypeE1EZNS0_21CUDA_tensor_histogramIhhLb0EEEbNS_6TensorES4_S4_lNS_14AccumulateTypeIT0_Lb1EE4typeES8_NS0_13TensorArgTypeES9_S9_EUllE_EEvNS0_6detail10TensorInfoIT_T1_EESF_NSC_IKS6_SE_EElS8_S8_SE_T6_
	.globl	_ZN2at4cuda17kernelHistogram1DIhhlLi1ELi2ELin1ELNS0_23CUDAHistogramMemoryTypeE1EZNS0_21CUDA_tensor_histogramIhhLb0EEEbNS_6TensorES4_S4_lNS_14AccumulateTypeIT0_Lb1EE4typeES8_NS0_13TensorArgTypeES9_S9_EUllE_EEvNS0_6detail10TensorInfoIT_T1_EESF_NSC_IKS6_SE_EElS8_S8_SE_T6_
	.p2align	8
	.type	_ZN2at4cuda17kernelHistogram1DIhhlLi1ELi2ELin1ELNS0_23CUDAHistogramMemoryTypeE1EZNS0_21CUDA_tensor_histogramIhhLb0EEEbNS_6TensorES4_S4_lNS_14AccumulateTypeIT0_Lb1EE4typeES8_NS0_13TensorArgTypeES9_S9_EUllE_EEvNS0_6detail10TensorInfoIT_T1_EESF_NSC_IKS6_SE_EElS8_S8_SE_T6_,@function
_ZN2at4cuda17kernelHistogram1DIhhlLi1ELi2ELin1ELNS0_23CUDAHistogramMemoryTypeE1EZNS0_21CUDA_tensor_histogramIhhLb0EEEbNS_6TensorES4_S4_lNS_14AccumulateTypeIT0_Lb1EE4typeES8_NS0_13TensorArgTypeES9_S9_EUllE_EEvNS0_6detail10TensorInfoIT_T1_EESF_NSC_IKS6_SE_EElS8_S8_SE_T6_: ; @_ZN2at4cuda17kernelHistogram1DIhhlLi1ELi2ELin1ELNS0_23CUDAHistogramMemoryTypeE1EZNS0_21CUDA_tensor_histogramIhhLb0EEEbNS_6TensorES4_S4_lNS_14AccumulateTypeIT0_Lb1EE4typeES8_NS0_13TensorArgTypeES9_S9_EUllE_EEvNS0_6detail10TensorInfoIT_T1_EESF_NSC_IKS6_SE_EElS8_S8_SE_T6_
; %bb.0:
	s_load_dword s2, s[4:5], 0x6ac
	s_load_dwordx8 s[8:15], s[4:5], 0x4e0
	s_add_u32 s0, s4, 0x6a0
	s_addc_u32 s1, s5, 0
	v_mov_b32_e32 v2, 0
	s_waitcnt lgkmcnt(0)
	s_and_b32 s2, s2, 0xffff
	s_mul_i32 s6, s6, s2
	v_add_u32_e32 v0, s6, v0
	v_mov_b32_e32 v1, v2
	v_cmp_gt_i64_e32 vcc, s[14:15], v[0:1]
	s_and_saveexec_b64 s[6:7], vcc
	s_cbranch_execz .LBB61_17
; %bb.1:
	s_load_dwordx2 s[6:7], s[4:5], 0x5d0
	s_load_dwordx2 s[16:17], s[4:5], 0x500
	s_load_dword s3, s[4:5], 0x4d8
	s_load_dwordx2 s[18:19], s[4:5], 0x0
	s_load_dwordx2 s[20:21], s[4:5], 0xd0
	s_load_dword s28, s[0:1], 0x0
	s_add_u32 s26, s4, 0x340
	s_addc_u32 s27, s5, 0
	s_mov_b32 s42, 0
	s_waitcnt lgkmcnt(0)
	s_cmp_gt_i32 s3, 1
	s_cselect_b64 s[0:1], -1, 0
	s_sub_u32 s33, s12, s10
	s_subb_u32 s40, s13, s11
	s_mul_i32 s41, s28, s2
	s_add_i32 s43, s3, 1
	s_add_i32 s2, s3, -1
	s_mov_b32 s3, s42
	s_load_dwordx2 s[22:23], s[4:5], 0x410
	s_load_dwordx2 s[24:25], s[4:5], 0x340
	s_lshl_b64 s[2:3], s[2:3], 3
	s_add_u32 s2, s2, s26
	s_addc_u32 s3, s3, s27
	s_add_u32 s4, s2, 8
	v_cndmask_b32_e64 v3, 0, 1, s[0:1]
	s_addc_u32 s5, s3, 0
	s_mov_b64 s[26:27], 0
	s_movk_i32 s44, 0xff
	v_cmp_ne_u32_e64 s[0:1], 1, v3
	s_branch .LBB61_3
.LBB61_2:                               ;   in Loop: Header=BB61_3 Depth=1
	s_or_b64 exec, exec, s[28:29]
	v_mov_b32_e32 v3, s42
	v_add_co_u32_e32 v0, vcc, s41, v0
	v_addc_co_u32_e32 v1, vcc, v1, v3, vcc
	v_cmp_le_i64_e32 vcc, s[14:15], v[0:1]
	s_or_b64 s[26:27], vcc, s[26:27]
	s_andn2_b64 exec, exec, s[26:27]
	s_cbranch_execz .LBB61_17
.LBB61_3:                               ; =>This Loop Header: Depth=1
                                        ;     Child Loop BB61_4 Depth 2
                                        ;     Child Loop BB61_16 Depth 2
	s_and_b64 vcc, exec, s[0:1]
	v_pk_mov_b32 v[4:5], 0, 0
	s_mov_b64 s[28:29], s[4:5]
	s_mov_b32 s45, s43
	v_pk_mov_b32 v[6:7], v[0:1], v[0:1] op_sel:[0,1]
	v_pk_mov_b32 v[8:9], v[0:1], v[0:1] op_sel:[0,1]
	s_cbranch_vccnz .LBB61_10
.LBB61_4:                               ;   Parent Loop BB61_3 Depth=1
                                        ; =>  This Inner Loop Header: Depth=2
	s_load_dwordx2 s[30:31], s[28:29], 0x0
                                        ; implicit-def: $vgpr8_vgpr9
	s_waitcnt lgkmcnt(0)
	v_or_b32_e32 v3, s31, v7
	v_cmp_ne_u64_e32 vcc, 0, v[2:3]
	s_and_saveexec_b64 s[2:3], vcc
	s_xor_b64 s[34:35], exec, s[2:3]
	s_cbranch_execz .LBB61_6
; %bb.5:                                ;   in Loop: Header=BB61_4 Depth=2
	s_ashr_i32 s36, s31, 31
	s_add_u32 s2, s30, s36
	s_mov_b32 s37, s36
	s_addc_u32 s3, s31, s36
	s_xor_b64 s[38:39], s[2:3], s[36:37]
	v_cvt_f32_u32_e32 v3, s38
	v_cvt_f32_u32_e32 v8, s39
	s_sub_u32 s2, 0, s38
	s_subb_u32 s3, 0, s39
	v_mac_f32_e32 v3, 0x4f800000, v8
	v_rcp_f32_e32 v3, v3
	v_mul_f32_e32 v3, 0x5f7ffffc, v3
	v_mul_f32_e32 v8, 0x2f800000, v3
	v_trunc_f32_e32 v8, v8
	v_mac_f32_e32 v3, 0xcf800000, v8
	v_cvt_u32_f32_e32 v8, v8
	v_cvt_u32_f32_e32 v3, v3
	v_mul_lo_u32 v9, s2, v8
	v_mul_hi_u32 v11, s2, v3
	v_mul_lo_u32 v10, s3, v3
	v_add_u32_e32 v9, v11, v9
	v_mul_lo_u32 v12, s2, v3
	v_add_u32_e32 v9, v9, v10
	v_mul_lo_u32 v11, v3, v9
	v_mul_hi_u32 v13, v3, v12
	v_mul_hi_u32 v10, v3, v9
	v_add_co_u32_e32 v11, vcc, v13, v11
	v_addc_co_u32_e32 v10, vcc, 0, v10, vcc
	v_mul_hi_u32 v14, v8, v12
	v_mul_lo_u32 v12, v8, v12
	v_add_co_u32_e32 v11, vcc, v11, v12
	v_mul_hi_u32 v13, v8, v9
	v_addc_co_u32_e32 v10, vcc, v10, v14, vcc
	v_addc_co_u32_e32 v11, vcc, 0, v13, vcc
	v_mul_lo_u32 v9, v8, v9
	v_add_co_u32_e32 v9, vcc, v10, v9
	v_addc_co_u32_e32 v10, vcc, 0, v11, vcc
	v_add_co_u32_e32 v3, vcc, v3, v9
	v_addc_co_u32_e32 v8, vcc, v8, v10, vcc
	v_mul_lo_u32 v9, s2, v8
	v_mul_hi_u32 v10, s2, v3
	v_add_u32_e32 v9, v10, v9
	v_mul_lo_u32 v10, s3, v3
	v_add_u32_e32 v9, v9, v10
	v_mul_lo_u32 v11, s2, v3
	v_mul_hi_u32 v12, v8, v11
	v_mul_lo_u32 v13, v8, v11
	v_mul_lo_u32 v15, v3, v9
	v_mul_hi_u32 v11, v3, v11
	v_mul_hi_u32 v14, v3, v9
	v_add_co_u32_e32 v11, vcc, v11, v15
	v_addc_co_u32_e32 v14, vcc, 0, v14, vcc
	v_add_co_u32_e32 v11, vcc, v11, v13
	v_mul_hi_u32 v10, v8, v9
	v_addc_co_u32_e32 v11, vcc, v14, v12, vcc
	v_addc_co_u32_e32 v10, vcc, 0, v10, vcc
	v_mul_lo_u32 v9, v8, v9
	v_add_co_u32_e32 v9, vcc, v11, v9
	v_addc_co_u32_e32 v10, vcc, 0, v10, vcc
	v_add_co_u32_e32 v3, vcc, v3, v9
	v_addc_co_u32_e32 v10, vcc, v8, v10, vcc
	v_ashrrev_i32_e32 v12, 31, v7
	v_add_co_u32_e32 v8, vcc, v6, v12
	v_addc_co_u32_e32 v9, vcc, v7, v12, vcc
	v_xor_b32_e32 v14, v8, v12
	v_xor_b32_e32 v13, v9, v12
	v_mad_u64_u32 v[8:9], s[2:3], v14, v10, 0
	v_mul_hi_u32 v11, v14, v3
	v_add_co_u32_e32 v15, vcc, v11, v8
	v_addc_co_u32_e32 v16, vcc, 0, v9, vcc
	v_mad_u64_u32 v[8:9], s[2:3], v13, v10, 0
	v_mad_u64_u32 v[10:11], s[2:3], v13, v3, 0
	v_add_co_u32_e32 v3, vcc, v15, v10
	v_addc_co_u32_e32 v3, vcc, v16, v11, vcc
	v_addc_co_u32_e32 v9, vcc, 0, v9, vcc
	v_add_co_u32_e32 v3, vcc, v3, v8
	v_addc_co_u32_e32 v10, vcc, 0, v9, vcc
	v_mul_lo_u32 v11, s39, v3
	v_mul_lo_u32 v15, s38, v10
	v_mad_u64_u32 v[8:9], s[2:3], s38, v3, 0
	v_add3_u32 v9, v9, v15, v11
	v_sub_u32_e32 v11, v13, v9
	v_mov_b32_e32 v15, s39
	v_sub_co_u32_e32 v8, vcc, v14, v8
	v_subb_co_u32_e64 v11, s[2:3], v11, v15, vcc
	v_subrev_co_u32_e64 v14, s[2:3], s38, v8
	v_subbrev_co_u32_e64 v11, s[2:3], 0, v11, s[2:3]
	v_cmp_le_u32_e64 s[2:3], s39, v11
	v_cndmask_b32_e64 v15, 0, -1, s[2:3]
	v_cmp_le_u32_e64 s[2:3], s38, v14
	v_cndmask_b32_e64 v14, 0, -1, s[2:3]
	v_cmp_eq_u32_e64 s[2:3], s39, v11
	v_cndmask_b32_e64 v11, v15, v14, s[2:3]
	v_add_co_u32_e64 v14, s[2:3], 2, v3
	v_subb_co_u32_e32 v9, vcc, v13, v9, vcc
	v_addc_co_u32_e64 v15, s[2:3], 0, v10, s[2:3]
	v_cmp_le_u32_e32 vcc, s39, v9
	v_add_co_u32_e64 v16, s[2:3], 1, v3
	v_cndmask_b32_e64 v13, 0, -1, vcc
	v_cmp_le_u32_e32 vcc, s38, v8
	v_addc_co_u32_e64 v17, s[2:3], 0, v10, s[2:3]
	v_cndmask_b32_e64 v8, 0, -1, vcc
	v_cmp_eq_u32_e32 vcc, s39, v9
	v_cmp_ne_u32_e64 s[2:3], 0, v11
	v_cndmask_b32_e32 v8, v13, v8, vcc
	v_cmp_ne_u32_e32 vcc, 0, v8
	v_cndmask_b32_e64 v9, v16, v14, s[2:3]
	v_cndmask_b32_e64 v11, v17, v15, s[2:3]
	v_cndmask_b32_e32 v3, v3, v9, vcc
	v_xor_b32_e32 v9, s36, v12
	v_cndmask_b32_e32 v8, v10, v11, vcc
	v_xor_b32_e32 v3, v3, v9
	v_xor_b32_e32 v10, v8, v9
	v_sub_co_u32_e32 v8, vcc, v3, v9
	v_subb_co_u32_e32 v9, vcc, v10, v9, vcc
.LBB61_6:                               ;   in Loop: Header=BB61_4 Depth=2
	s_andn2_saveexec_b64 s[2:3], s[34:35]
	s_cbranch_execz .LBB61_8
; %bb.7:                                ;   in Loop: Header=BB61_4 Depth=2
	v_cvt_f32_u32_e32 v3, s30
	s_sub_i32 s34, 0, s30
	v_rcp_iflag_f32_e32 v3, v3
	v_mul_f32_e32 v3, 0x4f7ffffe, v3
	v_cvt_u32_f32_e32 v3, v3
	v_mul_lo_u32 v8, s34, v3
	v_mul_hi_u32 v8, v3, v8
	v_add_u32_e32 v3, v3, v8
	v_mul_hi_u32 v3, v6, v3
	v_mul_lo_u32 v8, v3, s30
	v_sub_u32_e32 v8, v6, v8
	v_add_u32_e32 v9, 1, v3
	v_subrev_u32_e32 v10, s30, v8
	v_cmp_le_u32_e32 vcc, s30, v8
	v_cndmask_b32_e32 v8, v8, v10, vcc
	v_cndmask_b32_e32 v3, v3, v9, vcc
	v_add_u32_e32 v9, 1, v3
	v_cmp_le_u32_e32 vcc, s30, v8
	v_cndmask_b32_e32 v8, v3, v9, vcc
	v_mov_b32_e32 v9, v2
.LBB61_8:                               ;   in Loop: Header=BB61_4 Depth=2
	s_or_b64 exec, exec, s[2:3]
	v_mad_u64_u32 v[10:11], s[2:3], v8, s30, 0
	s_load_dwordx2 s[2:3], s[28:29], 0xc8
	v_mul_lo_u32 v3, v9, s30
	v_mul_lo_u32 v12, v8, s31
	v_add3_u32 v3, v11, v12, v3
	v_sub_co_u32_e32 v6, vcc, v6, v10
	s_add_i32 s45, s45, -1
	v_subb_co_u32_e32 v3, vcc, v7, v3, vcc
	s_add_u32 s28, s28, -8
	s_waitcnt lgkmcnt(0)
	v_mul_lo_u32 v3, s2, v3
	v_mul_lo_u32 v7, s3, v6
	v_mad_u64_u32 v[4:5], s[2:3], s2, v6, v[4:5]
	s_addc_u32 s29, s29, -1
	s_cmp_gt_u32 s45, 2
	v_add3_u32 v5, v7, v5, v3
	s_cbranch_scc0 .LBB61_10
; %bb.9:                                ;   in Loop: Header=BB61_4 Depth=2
	v_pk_mov_b32 v[6:7], v[8:9], v[8:9] op_sel:[0,1]
	s_branch .LBB61_4
.LBB61_10:                              ;   in Loop: Header=BB61_3 Depth=1
	s_waitcnt lgkmcnt(0)
	v_pk_mov_b32 v[6:7], s[24:25], s[24:25] op_sel:[0,1]
	v_mad_u64_u32 v[6:7], s[2:3], s22, v8, v[6:7]
	v_mul_lo_u32 v3, s22, v9
	v_mul_lo_u32 v8, s23, v8
	v_add3_u32 v3, v8, v7, v3
	v_add_co_u32_e32 v4, vcc, v6, v4
	v_addc_co_u32_e32 v5, vcc, v3, v5, vcc
	global_load_ubyte v3, v[4:5], off
	v_mov_b32_e32 v5, s42
	s_waitcnt vmcnt(0)
	v_and_b32_e32 v4, 0xffff, v3
	v_cmp_le_i64_e32 vcc, s[10:11], v[4:5]
	v_cmp_ge_i64_e64 s[2:3], s[12:13], v[4:5]
	s_and_b64 s[2:3], vcc, s[2:3]
	s_and_saveexec_b64 s[28:29], s[2:3]
	s_cbranch_execz .LBB61_2
; %bb.11:                               ;   in Loop: Header=BB61_3 Depth=1
	v_mov_b32_e32 v3, s11
	v_subrev_co_u32_e32 v4, vcc, s10, v4
	v_subb_co_u32_e32 v3, vcc, 0, v3, vcc
	v_mul_lo_u32 v3, v3, s8
	v_mul_lo_u32 v6, v4, s9
	v_mad_u64_u32 v[4:5], s[2:3], v4, s8, 0
	v_add3_u32 v5, v5, v6, v3
	v_or_b32_e32 v3, s40, v5
	v_cmp_ne_u64_e32 vcc, 0, v[2:3]
                                        ; implicit-def: $vgpr6_vgpr7
	s_and_saveexec_b64 s[2:3], vcc
	s_xor_b64 s[30:31], exec, s[2:3]
	s_cbranch_execz .LBB61_13
; %bb.12:                               ;   in Loop: Header=BB61_3 Depth=1
	s_ashr_i32 s34, s40, 31
	s_add_u32 s2, s33, s34
	s_mov_b32 s35, s34
	s_addc_u32 s3, s40, s34
	s_xor_b64 s[36:37], s[2:3], s[34:35]
	v_cvt_f32_u32_e32 v3, s36
	v_cvt_f32_u32_e32 v6, s37
	s_sub_u32 s2, 0, s36
	s_subb_u32 s3, 0, s37
	v_mac_f32_e32 v3, 0x4f800000, v6
	v_rcp_f32_e32 v3, v3
	v_mul_f32_e32 v3, 0x5f7ffffc, v3
	v_mul_f32_e32 v6, 0x2f800000, v3
	v_trunc_f32_e32 v6, v6
	v_mac_f32_e32 v3, 0xcf800000, v6
	v_cvt_u32_f32_e32 v6, v6
	v_cvt_u32_f32_e32 v3, v3
	v_mul_lo_u32 v7, s2, v6
	v_mul_hi_u32 v9, s2, v3
	v_mul_lo_u32 v8, s3, v3
	v_add_u32_e32 v7, v9, v7
	v_mul_lo_u32 v10, s2, v3
	v_add_u32_e32 v7, v7, v8
	v_mul_lo_u32 v9, v3, v7
	v_mul_hi_u32 v11, v3, v10
	v_mul_hi_u32 v8, v3, v7
	v_add_co_u32_e32 v9, vcc, v11, v9
	v_addc_co_u32_e32 v8, vcc, 0, v8, vcc
	v_mul_hi_u32 v12, v6, v10
	v_mul_lo_u32 v10, v6, v10
	v_add_co_u32_e32 v9, vcc, v9, v10
	v_mul_hi_u32 v11, v6, v7
	v_addc_co_u32_e32 v8, vcc, v8, v12, vcc
	v_addc_co_u32_e32 v9, vcc, 0, v11, vcc
	v_mul_lo_u32 v7, v6, v7
	v_add_co_u32_e32 v7, vcc, v8, v7
	v_addc_co_u32_e32 v8, vcc, 0, v9, vcc
	v_add_co_u32_e32 v3, vcc, v3, v7
	v_addc_co_u32_e32 v6, vcc, v6, v8, vcc
	v_mul_lo_u32 v7, s2, v6
	v_mul_hi_u32 v8, s2, v3
	v_add_u32_e32 v7, v8, v7
	v_mul_lo_u32 v8, s3, v3
	v_add_u32_e32 v7, v7, v8
	v_mul_lo_u32 v9, s2, v3
	v_mul_hi_u32 v10, v6, v9
	v_mul_lo_u32 v11, v6, v9
	v_mul_lo_u32 v13, v3, v7
	v_mul_hi_u32 v9, v3, v9
	v_mul_hi_u32 v12, v3, v7
	v_add_co_u32_e32 v9, vcc, v9, v13
	v_addc_co_u32_e32 v12, vcc, 0, v12, vcc
	v_add_co_u32_e32 v9, vcc, v9, v11
	v_mul_hi_u32 v8, v6, v7
	v_addc_co_u32_e32 v9, vcc, v12, v10, vcc
	v_addc_co_u32_e32 v8, vcc, 0, v8, vcc
	v_mul_lo_u32 v7, v6, v7
	v_add_co_u32_e32 v7, vcc, v9, v7
	v_addc_co_u32_e32 v8, vcc, 0, v8, vcc
	v_add_co_u32_e32 v3, vcc, v3, v7
	v_addc_co_u32_e32 v6, vcc, v6, v8, vcc
	v_ashrrev_i32_e32 v8, 31, v5
	v_add_co_u32_e32 v4, vcc, v4, v8
	v_addc_co_u32_e32 v5, vcc, v5, v8, vcc
	v_xor_b32_e32 v10, v4, v8
	v_xor_b32_e32 v9, v5, v8
	v_mad_u64_u32 v[4:5], s[2:3], v10, v6, 0
	v_mul_hi_u32 v7, v10, v3
	v_add_co_u32_e32 v11, vcc, v7, v4
	v_addc_co_u32_e32 v12, vcc, 0, v5, vcc
	v_mad_u64_u32 v[4:5], s[2:3], v9, v6, 0
	v_mad_u64_u32 v[6:7], s[2:3], v9, v3, 0
	v_add_co_u32_e32 v3, vcc, v11, v6
	v_addc_co_u32_e32 v3, vcc, v12, v7, vcc
	v_addc_co_u32_e32 v5, vcc, 0, v5, vcc
	v_add_co_u32_e32 v3, vcc, v3, v4
	v_addc_co_u32_e32 v4, vcc, 0, v5, vcc
	v_mul_lo_u32 v6, s37, v3
	v_mul_lo_u32 v7, s36, v4
	v_mad_u64_u32 v[4:5], s[2:3], s36, v3, 0
	v_add3_u32 v5, v5, v7, v6
	v_sub_u32_e32 v6, v9, v5
	v_mov_b32_e32 v7, s37
	v_sub_co_u32_e32 v4, vcc, v10, v4
	v_subb_co_u32_e64 v6, s[2:3], v6, v7, vcc
	v_subrev_co_u32_e64 v7, s[2:3], s36, v4
	v_subbrev_co_u32_e64 v6, s[2:3], 0, v6, s[2:3]
	v_cmp_le_u32_e64 s[2:3], s37, v6
	v_subb_co_u32_e32 v5, vcc, v9, v5, vcc
	v_cndmask_b32_e64 v10, 0, -1, s[2:3]
	v_cmp_le_u32_e64 s[2:3], s36, v7
	v_cmp_le_u32_e32 vcc, s37, v5
	v_cndmask_b32_e64 v7, 0, -1, s[2:3]
	v_cmp_eq_u32_e64 s[2:3], s37, v6
	v_cndmask_b32_e64 v9, 0, -1, vcc
	v_cmp_le_u32_e32 vcc, s36, v4
	v_cndmask_b32_e64 v6, v10, v7, s[2:3]
	v_cndmask_b32_e64 v4, 0, -1, vcc
	v_cmp_eq_u32_e32 vcc, s37, v5
	v_add_co_u32_e64 v7, s[2:3], 2, v3
	v_add_co_u32_e64 v10, s[2:3], 1, v3
	v_cndmask_b32_e32 v4, v9, v4, vcc
	v_cmp_ne_u32_e32 vcc, 0, v6
	v_cndmask_b32_e32 v5, v10, v7, vcc
	v_cmp_ne_u32_e32 vcc, 0, v4
	v_cndmask_b32_e32 v3, v3, v5, vcc
	v_xor_b32_e32 v4, s34, v8
	v_xor_b32_e32 v3, v3, v4
	v_sub_co_u32_e32 v6, vcc, v3, v4
                                        ; implicit-def: $vgpr4_vgpr5
.LBB61_13:                              ;   in Loop: Header=BB61_3 Depth=1
	s_andn2_saveexec_b64 s[2:3], s[30:31]
	s_cbranch_execz .LBB61_15
; %bb.14:                               ;   in Loop: Header=BB61_3 Depth=1
	v_cvt_f32_u32_e32 v3, s33
	s_sub_i32 s30, 0, s33
	v_rcp_iflag_f32_e32 v3, v3
	v_mul_f32_e32 v3, 0x4f7ffffe, v3
	v_cvt_u32_f32_e32 v3, v3
	v_mul_lo_u32 v5, s30, v3
	v_mul_hi_u32 v5, v3, v5
	v_add_u32_e32 v3, v3, v5
	v_mul_hi_u32 v3, v4, v3
	v_mul_lo_u32 v5, v3, s33
	v_sub_u32_e32 v4, v4, v5
	v_add_u32_e32 v6, 1, v3
	v_subrev_u32_e32 v5, s33, v4
	v_cmp_le_u32_e32 vcc, s33, v4
	v_cndmask_b32_e32 v4, v4, v5, vcc
	v_cndmask_b32_e32 v3, v3, v6, vcc
	v_add_u32_e32 v5, 1, v3
	v_cmp_le_u32_e32 vcc, s33, v4
	v_cndmask_b32_e32 v6, v3, v5, vcc
.LBB61_15:                              ;   in Loop: Header=BB61_3 Depth=1
	s_or_b64 exec, exec, s[2:3]
	v_ashrrev_i32_e32 v7, 31, v6
	v_cmp_eq_u64_e32 vcc, s[8:9], v[6:7]
	v_cndmask_b32_e64 v3, 0, 1, vcc
	v_sub_co_u32_e32 v3, vcc, v6, v3
	v_subbrev_co_u32_e32 v4, vcc, 0, v7, vcc
	v_mul_lo_u32 v9, v4, s20
	v_pk_mov_b32 v[4:5], s[18:19], s[18:19] op_sel:[0,1]
	v_mul_lo_u32 v8, v3, s21
	v_mad_u64_u32 v[6:7], s[2:3], v3, s20, v[4:5]
	v_add3_u32 v5, v9, v7, v8
	v_pk_mov_b32 v[8:9], s[16:17], s[16:17] op_sel:[0,1]
	v_mad_u64_u32 v[8:9], s[2:3], v0, s6, v[8:9]
	v_mul_lo_u32 v3, v0, s7
	v_mul_lo_u32 v4, v1, s6
	v_add3_u32 v9, v4, v9, v3
	v_and_b32_e32 v4, -4, v6
	global_load_ubyte v3, v[8:9], off
	global_load_dword v7, v[4:5], off
	v_and_b32_e32 v6, 3, v6
	v_lshlrev_b32_e32 v8, 3, v6
	v_lshlrev_b32_e64 v6, v8, s44
	v_not_b32_e32 v9, v6
	s_mov_b64 s[2:3], 0
.LBB61_16:                              ;   Parent Loop BB61_3 Depth=1
                                        ; =>  This Inner Loop Header: Depth=2
	s_waitcnt vmcnt(0)
	v_lshrrev_b32_e32 v6, v8, v7
	v_add_u16_e32 v6, v3, v6
	v_and_b32_e32 v10, v7, v9
	v_and_b32_e32 v6, 0xff, v6
	v_lshl_or_b32 v6, v6, v8, v10
	global_atomic_cmpswap v6, v[4:5], v[6:7], off glc
	s_waitcnt vmcnt(0)
	v_cmp_eq_u32_e32 vcc, v7, v6
	s_or_b64 s[2:3], vcc, s[2:3]
	v_mov_b32_e32 v7, v6
	s_andn2_b64 exec, exec, s[2:3]
	s_cbranch_execnz .LBB61_16
	s_branch .LBB61_2
.LBB61_17:
	s_endpgm
	.section	.rodata,"a",@progbits
	.p2align	6, 0x0
	.amdhsa_kernel _ZN2at4cuda17kernelHistogram1DIhhlLi1ELi2ELin1ELNS0_23CUDAHistogramMemoryTypeE1EZNS0_21CUDA_tensor_histogramIhhLb0EEEbNS_6TensorES4_S4_lNS_14AccumulateTypeIT0_Lb1EE4typeES8_NS0_13TensorArgTypeES9_S9_EUllE_EEvNS0_6detail10TensorInfoIT_T1_EESF_NSC_IKS6_SE_EElS8_S8_SE_T6_
		.amdhsa_group_segment_fixed_size 0
		.amdhsa_private_segment_fixed_size 0
		.amdhsa_kernarg_size 1952
		.amdhsa_user_sgpr_count 6
		.amdhsa_user_sgpr_private_segment_buffer 1
		.amdhsa_user_sgpr_dispatch_ptr 0
		.amdhsa_user_sgpr_queue_ptr 0
		.amdhsa_user_sgpr_kernarg_segment_ptr 1
		.amdhsa_user_sgpr_dispatch_id 0
		.amdhsa_user_sgpr_flat_scratch_init 0
		.amdhsa_user_sgpr_kernarg_preload_length 0
		.amdhsa_user_sgpr_kernarg_preload_offset 0
		.amdhsa_user_sgpr_private_segment_size 0
		.amdhsa_uses_dynamic_stack 0
		.amdhsa_system_sgpr_private_segment_wavefront_offset 0
		.amdhsa_system_sgpr_workgroup_id_x 1
		.amdhsa_system_sgpr_workgroup_id_y 0
		.amdhsa_system_sgpr_workgroup_id_z 0
		.amdhsa_system_sgpr_workgroup_info 0
		.amdhsa_system_vgpr_workitem_id 0
		.amdhsa_next_free_vgpr 18
		.amdhsa_next_free_sgpr 46
		.amdhsa_accum_offset 20
		.amdhsa_reserve_vcc 1
		.amdhsa_reserve_flat_scratch 0
		.amdhsa_float_round_mode_32 0
		.amdhsa_float_round_mode_16_64 0
		.amdhsa_float_denorm_mode_32 3
		.amdhsa_float_denorm_mode_16_64 3
		.amdhsa_dx10_clamp 1
		.amdhsa_ieee_mode 1
		.amdhsa_fp16_overflow 0
		.amdhsa_tg_split 0
		.amdhsa_exception_fp_ieee_invalid_op 0
		.amdhsa_exception_fp_denorm_src 0
		.amdhsa_exception_fp_ieee_div_zero 0
		.amdhsa_exception_fp_ieee_overflow 0
		.amdhsa_exception_fp_ieee_underflow 0
		.amdhsa_exception_fp_ieee_inexact 0
		.amdhsa_exception_int_div_zero 0
	.end_amdhsa_kernel
	.section	.text._ZN2at4cuda17kernelHistogram1DIhhlLi1ELi2ELin1ELNS0_23CUDAHistogramMemoryTypeE1EZNS0_21CUDA_tensor_histogramIhhLb0EEEbNS_6TensorES4_S4_lNS_14AccumulateTypeIT0_Lb1EE4typeES8_NS0_13TensorArgTypeES9_S9_EUllE_EEvNS0_6detail10TensorInfoIT_T1_EESF_NSC_IKS6_SE_EElS8_S8_SE_T6_,"axG",@progbits,_ZN2at4cuda17kernelHistogram1DIhhlLi1ELi2ELin1ELNS0_23CUDAHistogramMemoryTypeE1EZNS0_21CUDA_tensor_histogramIhhLb0EEEbNS_6TensorES4_S4_lNS_14AccumulateTypeIT0_Lb1EE4typeES8_NS0_13TensorArgTypeES9_S9_EUllE_EEvNS0_6detail10TensorInfoIT_T1_EESF_NSC_IKS6_SE_EElS8_S8_SE_T6_,comdat
.Lfunc_end61:
	.size	_ZN2at4cuda17kernelHistogram1DIhhlLi1ELi2ELin1ELNS0_23CUDAHistogramMemoryTypeE1EZNS0_21CUDA_tensor_histogramIhhLb0EEEbNS_6TensorES4_S4_lNS_14AccumulateTypeIT0_Lb1EE4typeES8_NS0_13TensorArgTypeES9_S9_EUllE_EEvNS0_6detail10TensorInfoIT_T1_EESF_NSC_IKS6_SE_EElS8_S8_SE_T6_, .Lfunc_end61-_ZN2at4cuda17kernelHistogram1DIhhlLi1ELi2ELin1ELNS0_23CUDAHistogramMemoryTypeE1EZNS0_21CUDA_tensor_histogramIhhLb0EEEbNS_6TensorES4_S4_lNS_14AccumulateTypeIT0_Lb1EE4typeES8_NS0_13TensorArgTypeES9_S9_EUllE_EEvNS0_6detail10TensorInfoIT_T1_EESF_NSC_IKS6_SE_EElS8_S8_SE_T6_
                                        ; -- End function
	.section	.AMDGPU.csdata,"",@progbits
; Kernel info:
; codeLenInByte = 2348
; NumSgprs: 50
; NumVgprs: 18
; NumAgprs: 0
; TotalNumVgprs: 18
; ScratchSize: 0
; MemoryBound: 0
; FloatMode: 240
; IeeeMode: 1
; LDSByteSize: 0 bytes/workgroup (compile time only)
; SGPRBlocks: 6
; VGPRBlocks: 2
; NumSGPRsForWavesPerEU: 50
; NumVGPRsForWavesPerEU: 18
; AccumOffset: 20
; Occupancy: 8
; WaveLimiterHint : 1
; COMPUTE_PGM_RSRC2:SCRATCH_EN: 0
; COMPUTE_PGM_RSRC2:USER_SGPR: 6
; COMPUTE_PGM_RSRC2:TRAP_HANDLER: 0
; COMPUTE_PGM_RSRC2:TGID_X_EN: 1
; COMPUTE_PGM_RSRC2:TGID_Y_EN: 0
; COMPUTE_PGM_RSRC2:TGID_Z_EN: 0
; COMPUTE_PGM_RSRC2:TIDIG_COMP_CNT: 0
; COMPUTE_PGM_RSRC3_GFX90A:ACCUM_OFFSET: 4
; COMPUTE_PGM_RSRC3_GFX90A:TG_SPLIT: 0
	.section	.text._ZN2at4cuda17kernelHistogram1DIhhlLi1ELi2ELin1ELNS0_23CUDAHistogramMemoryTypeE0EZNS0_21CUDA_tensor_histogramIhhLb0EEEbNS_6TensorES4_S4_lNS_14AccumulateTypeIT0_Lb1EE4typeES8_NS0_13TensorArgTypeES9_S9_EUllE0_EEvNS0_6detail10TensorInfoIT_T1_EESF_NSC_IKS6_SE_EElS8_S8_SE_T6_,"axG",@progbits,_ZN2at4cuda17kernelHistogram1DIhhlLi1ELi2ELin1ELNS0_23CUDAHistogramMemoryTypeE0EZNS0_21CUDA_tensor_histogramIhhLb0EEEbNS_6TensorES4_S4_lNS_14AccumulateTypeIT0_Lb1EE4typeES8_NS0_13TensorArgTypeES9_S9_EUllE0_EEvNS0_6detail10TensorInfoIT_T1_EESF_NSC_IKS6_SE_EElS8_S8_SE_T6_,comdat
	.protected	_ZN2at4cuda17kernelHistogram1DIhhlLi1ELi2ELin1ELNS0_23CUDAHistogramMemoryTypeE0EZNS0_21CUDA_tensor_histogramIhhLb0EEEbNS_6TensorES4_S4_lNS_14AccumulateTypeIT0_Lb1EE4typeES8_NS0_13TensorArgTypeES9_S9_EUllE0_EEvNS0_6detail10TensorInfoIT_T1_EESF_NSC_IKS6_SE_EElS8_S8_SE_T6_ ; -- Begin function _ZN2at4cuda17kernelHistogram1DIhhlLi1ELi2ELin1ELNS0_23CUDAHistogramMemoryTypeE0EZNS0_21CUDA_tensor_histogramIhhLb0EEEbNS_6TensorES4_S4_lNS_14AccumulateTypeIT0_Lb1EE4typeES8_NS0_13TensorArgTypeES9_S9_EUllE0_EEvNS0_6detail10TensorInfoIT_T1_EESF_NSC_IKS6_SE_EElS8_S8_SE_T6_
	.globl	_ZN2at4cuda17kernelHistogram1DIhhlLi1ELi2ELin1ELNS0_23CUDAHistogramMemoryTypeE0EZNS0_21CUDA_tensor_histogramIhhLb0EEEbNS_6TensorES4_S4_lNS_14AccumulateTypeIT0_Lb1EE4typeES8_NS0_13TensorArgTypeES9_S9_EUllE0_EEvNS0_6detail10TensorInfoIT_T1_EESF_NSC_IKS6_SE_EElS8_S8_SE_T6_
	.p2align	8
	.type	_ZN2at4cuda17kernelHistogram1DIhhlLi1ELi2ELin1ELNS0_23CUDAHistogramMemoryTypeE0EZNS0_21CUDA_tensor_histogramIhhLb0EEEbNS_6TensorES4_S4_lNS_14AccumulateTypeIT0_Lb1EE4typeES8_NS0_13TensorArgTypeES9_S9_EUllE0_EEvNS0_6detail10TensorInfoIT_T1_EESF_NSC_IKS6_SE_EElS8_S8_SE_T6_,@function
_ZN2at4cuda17kernelHistogram1DIhhlLi1ELi2ELin1ELNS0_23CUDAHistogramMemoryTypeE0EZNS0_21CUDA_tensor_histogramIhhLb0EEEbNS_6TensorES4_S4_lNS_14AccumulateTypeIT0_Lb1EE4typeES8_NS0_13TensorArgTypeES9_S9_EUllE0_EEvNS0_6detail10TensorInfoIT_T1_EESF_NSC_IKS6_SE_EElS8_S8_SE_T6_: ; @_ZN2at4cuda17kernelHistogram1DIhhlLi1ELi2ELin1ELNS0_23CUDAHistogramMemoryTypeE0EZNS0_21CUDA_tensor_histogramIhhLb0EEEbNS_6TensorES4_S4_lNS_14AccumulateTypeIT0_Lb1EE4typeES8_NS0_13TensorArgTypeES9_S9_EUllE0_EEvNS0_6detail10TensorInfoIT_T1_EESF_NSC_IKS6_SE_EElS8_S8_SE_T6_
; %bb.0:
	s_load_dwordx4 s[16:19], s[4:5], 0x0
	v_mov_b32_e32 v1, 0
	s_add_u32 s2, s4, 0x508
	s_addc_u32 s3, s5, 0
                                        ; implicit-def: $sgpr10
                                        ; implicit-def: $sgpr7
	s_waitcnt lgkmcnt(0)
	v_cmp_gt_i64_e64 s[0:1], s[18:19], v[0:1]
	v_cmp_le_i64_e32 vcc, s[18:19], v[0:1]
	s_and_saveexec_b64 s[8:9], vcc
	s_xor_b64 s[8:9], exec, s[8:9]
	s_cbranch_execz .LBB62_2
; %bb.1:
	s_load_dword s10, s[2:3], 0xc
	s_waitcnt lgkmcnt(0)
	s_and_b32 s7, s10, 0xffff
.LBB62_2:
	s_or_saveexec_b64 s[8:9], s[8:9]
	s_load_dwordx2 s[20:21], s[4:5], 0xd0
	v_mov_b32_e32 v7, s10
	v_mov_b32_e32 v5, s7
	s_xor_b64 exec, exec, s[8:9]
	s_cbranch_execz .LBB62_6
; %bb.3:
	s_load_dword s7, s[2:3], 0xc
	s_mov_b32 s13, 0
	v_add_u32_e32 v4, 0, v0
	s_mov_b64 s[10:11], 0
	v_mov_b32_e32 v5, 0
	s_waitcnt lgkmcnt(0)
	s_and_b32 s12, s7, 0xffff
	v_mov_b32_e32 v6, s13
	v_pk_mov_b32 v[2:3], v[0:1], v[0:1] op_sel:[0,1]
.LBB62_4:                               ; =>This Inner Loop Header: Depth=1
	v_add_co_u32_e32 v2, vcc, s12, v2
	v_addc_co_u32_e32 v3, vcc, v3, v6, vcc
	v_cmp_le_i64_e32 vcc, s[18:19], v[2:3]
	ds_write_b8 v4, v5
	s_or_b64 s[10:11], vcc, s[10:11]
	v_add_u32_e32 v4, s12, v4
	s_andn2_b64 exec, exec, s[10:11]
	s_cbranch_execnz .LBB62_4
; %bb.5:
	s_or_b64 exec, exec, s[10:11]
	v_mov_b32_e32 v7, s7
	v_mov_b32_e32 v5, s12
.LBB62_6:
	s_or_b64 exec, exec, s[8:9]
	s_load_dwordx8 s[8:15], s[4:5], 0x4e0
	v_mad_u64_u32 v[2:3], s[6:7], s6, v5, v[0:1]
	v_mov_b32_e32 v4, 0
	v_mov_b32_e32 v3, v4
	s_waitcnt lgkmcnt(0)
	v_cmp_gt_i64_e32 vcc, s[14:15], v[2:3]
	s_barrier
	s_and_saveexec_b64 s[6:7], vcc
	s_cbranch_execz .LBB62_23
; %bb.7:
	s_load_dword s26, s[4:5], 0x4d8
	s_load_dwordx2 s[22:23], s[4:5], 0x410
	s_load_dwordx2 s[24:25], s[4:5], 0x340
	s_load_dword s27, s[2:3], 0x0
	s_add_u32 s28, s4, 0x340
	s_addc_u32 s29, s5, 0
	s_waitcnt lgkmcnt(0)
	s_cmp_gt_i32 s26, 1
	s_cselect_b64 s[2:3], -1, 0
	s_sub_u32 s33, s12, s10
	s_subb_u32 s44, s13, s11
	v_mul_lo_u32 v6, s27, v5
	s_mov_b32 s27, 0
	s_add_i32 s45, s26, 1
	s_add_i32 s26, s26, -1
	s_lshl_b64 s[4:5], s[26:27], 3
	s_add_u32 s4, s4, s28
	s_addc_u32 s5, s5, s29
	s_add_u32 s28, s4, 8
	v_cndmask_b32_e64 v5, 0, 1, s[2:3]
	s_addc_u32 s29, s5, 0
	s_mov_b64 s[30:31], 0
	v_cmp_ne_u32_e64 s[2:3], 1, v5
	s_movk_i32 s26, 0xff
	s_branch .LBB62_9
.LBB62_8:                               ;   in Loop: Header=BB62_9 Depth=1
	s_or_b64 exec, exec, s[34:35]
	v_add_co_u32_e32 v2, vcc, v2, v6
	v_addc_co_u32_e32 v3, vcc, 0, v3, vcc
	v_cmp_le_i64_e32 vcc, s[14:15], v[2:3]
	s_or_b64 s[30:31], vcc, s[30:31]
	s_andn2_b64 exec, exec, s[30:31]
	s_cbranch_execz .LBB62_23
.LBB62_9:                               ; =>This Loop Header: Depth=1
                                        ;     Child Loop BB62_10 Depth 2
                                        ;     Child Loop BB62_22 Depth 2
	s_and_b64 vcc, exec, s[2:3]
	v_pk_mov_b32 v[8:9], 0, 0
	s_mov_b64 s[34:35], s[28:29]
	s_mov_b32 s46, s45
	v_pk_mov_b32 v[10:11], v[2:3], v[2:3] op_sel:[0,1]
	v_pk_mov_b32 v[12:13], v[2:3], v[2:3] op_sel:[0,1]
	s_cbranch_vccnz .LBB62_16
.LBB62_10:                              ;   Parent Loop BB62_9 Depth=1
                                        ; =>  This Inner Loop Header: Depth=2
	s_load_dwordx2 s[36:37], s[34:35], 0x0
                                        ; implicit-def: $vgpr12_vgpr13
	s_waitcnt lgkmcnt(0)
	v_or_b32_e32 v5, s37, v11
	v_cmp_ne_u64_e32 vcc, 0, v[4:5]
	s_and_saveexec_b64 s[4:5], vcc
	s_xor_b64 s[38:39], exec, s[4:5]
	s_cbranch_execz .LBB62_12
; %bb.11:                               ;   in Loop: Header=BB62_10 Depth=2
	s_ashr_i32 s40, s37, 31
	s_add_u32 s4, s36, s40
	s_mov_b32 s41, s40
	s_addc_u32 s5, s37, s40
	s_xor_b64 s[42:43], s[4:5], s[40:41]
	v_cvt_f32_u32_e32 v5, s42
	v_cvt_f32_u32_e32 v12, s43
	s_sub_u32 s4, 0, s42
	s_subb_u32 s5, 0, s43
	v_mac_f32_e32 v5, 0x4f800000, v12
	v_rcp_f32_e32 v5, v5
	v_mul_f32_e32 v5, 0x5f7ffffc, v5
	v_mul_f32_e32 v12, 0x2f800000, v5
	v_trunc_f32_e32 v12, v12
	v_mac_f32_e32 v5, 0xcf800000, v12
	v_cvt_u32_f32_e32 v12, v12
	v_cvt_u32_f32_e32 v5, v5
	v_mul_lo_u32 v13, s4, v12
	v_mul_hi_u32 v15, s4, v5
	v_mul_lo_u32 v14, s5, v5
	v_add_u32_e32 v13, v15, v13
	v_mul_lo_u32 v16, s4, v5
	v_add_u32_e32 v13, v13, v14
	v_mul_lo_u32 v15, v5, v13
	v_mul_hi_u32 v17, v5, v16
	v_mul_hi_u32 v14, v5, v13
	v_add_co_u32_e32 v15, vcc, v17, v15
	v_addc_co_u32_e32 v14, vcc, 0, v14, vcc
	v_mul_hi_u32 v18, v12, v16
	v_mul_lo_u32 v16, v12, v16
	v_add_co_u32_e32 v15, vcc, v15, v16
	v_mul_hi_u32 v17, v12, v13
	v_addc_co_u32_e32 v14, vcc, v14, v18, vcc
	v_addc_co_u32_e32 v15, vcc, 0, v17, vcc
	v_mul_lo_u32 v13, v12, v13
	v_add_co_u32_e32 v13, vcc, v14, v13
	v_addc_co_u32_e32 v14, vcc, 0, v15, vcc
	v_add_co_u32_e32 v5, vcc, v5, v13
	v_addc_co_u32_e32 v12, vcc, v12, v14, vcc
	v_mul_lo_u32 v13, s4, v12
	v_mul_hi_u32 v14, s4, v5
	v_add_u32_e32 v13, v14, v13
	v_mul_lo_u32 v14, s5, v5
	v_add_u32_e32 v13, v13, v14
	v_mul_lo_u32 v15, s4, v5
	v_mul_hi_u32 v16, v12, v15
	v_mul_lo_u32 v17, v12, v15
	v_mul_lo_u32 v19, v5, v13
	v_mul_hi_u32 v15, v5, v15
	v_mul_hi_u32 v18, v5, v13
	v_add_co_u32_e32 v15, vcc, v15, v19
	v_addc_co_u32_e32 v18, vcc, 0, v18, vcc
	v_add_co_u32_e32 v15, vcc, v15, v17
	v_mul_hi_u32 v14, v12, v13
	v_addc_co_u32_e32 v15, vcc, v18, v16, vcc
	v_addc_co_u32_e32 v14, vcc, 0, v14, vcc
	v_mul_lo_u32 v13, v12, v13
	v_add_co_u32_e32 v13, vcc, v15, v13
	v_addc_co_u32_e32 v14, vcc, 0, v14, vcc
	v_add_co_u32_e32 v5, vcc, v5, v13
	v_addc_co_u32_e32 v14, vcc, v12, v14, vcc
	v_ashrrev_i32_e32 v16, 31, v11
	v_add_co_u32_e32 v12, vcc, v10, v16
	v_addc_co_u32_e32 v13, vcc, v11, v16, vcc
	v_xor_b32_e32 v18, v12, v16
	v_xor_b32_e32 v17, v13, v16
	v_mad_u64_u32 v[12:13], s[4:5], v18, v14, 0
	v_mul_hi_u32 v15, v18, v5
	v_add_co_u32_e32 v19, vcc, v15, v12
	v_addc_co_u32_e32 v20, vcc, 0, v13, vcc
	v_mad_u64_u32 v[12:13], s[4:5], v17, v14, 0
	v_mad_u64_u32 v[14:15], s[4:5], v17, v5, 0
	v_add_co_u32_e32 v5, vcc, v19, v14
	v_addc_co_u32_e32 v5, vcc, v20, v15, vcc
	v_addc_co_u32_e32 v13, vcc, 0, v13, vcc
	v_add_co_u32_e32 v5, vcc, v5, v12
	v_addc_co_u32_e32 v14, vcc, 0, v13, vcc
	v_mul_lo_u32 v15, s43, v5
	v_mul_lo_u32 v19, s42, v14
	v_mad_u64_u32 v[12:13], s[4:5], s42, v5, 0
	v_add3_u32 v13, v13, v19, v15
	v_sub_u32_e32 v15, v17, v13
	v_mov_b32_e32 v19, s43
	v_sub_co_u32_e32 v12, vcc, v18, v12
	v_subb_co_u32_e64 v15, s[4:5], v15, v19, vcc
	v_subrev_co_u32_e64 v18, s[4:5], s42, v12
	v_subbrev_co_u32_e64 v15, s[4:5], 0, v15, s[4:5]
	v_cmp_le_u32_e64 s[4:5], s43, v15
	v_cndmask_b32_e64 v19, 0, -1, s[4:5]
	v_cmp_le_u32_e64 s[4:5], s42, v18
	v_cndmask_b32_e64 v18, 0, -1, s[4:5]
	v_cmp_eq_u32_e64 s[4:5], s43, v15
	v_cndmask_b32_e64 v15, v19, v18, s[4:5]
	v_add_co_u32_e64 v18, s[4:5], 2, v5
	v_subb_co_u32_e32 v13, vcc, v17, v13, vcc
	v_addc_co_u32_e64 v19, s[4:5], 0, v14, s[4:5]
	v_cmp_le_u32_e32 vcc, s43, v13
	v_add_co_u32_e64 v20, s[4:5], 1, v5
	v_cndmask_b32_e64 v17, 0, -1, vcc
	v_cmp_le_u32_e32 vcc, s42, v12
	v_addc_co_u32_e64 v21, s[4:5], 0, v14, s[4:5]
	v_cndmask_b32_e64 v12, 0, -1, vcc
	v_cmp_eq_u32_e32 vcc, s43, v13
	v_cmp_ne_u32_e64 s[4:5], 0, v15
	v_cndmask_b32_e32 v12, v17, v12, vcc
	v_cmp_ne_u32_e32 vcc, 0, v12
	v_cndmask_b32_e64 v13, v20, v18, s[4:5]
	v_cndmask_b32_e64 v15, v21, v19, s[4:5]
	v_cndmask_b32_e32 v5, v5, v13, vcc
	v_xor_b32_e32 v13, s40, v16
	v_cndmask_b32_e32 v12, v14, v15, vcc
	v_xor_b32_e32 v5, v5, v13
	v_xor_b32_e32 v14, v12, v13
	v_sub_co_u32_e32 v12, vcc, v5, v13
	v_subb_co_u32_e32 v13, vcc, v14, v13, vcc
.LBB62_12:                              ;   in Loop: Header=BB62_10 Depth=2
	s_andn2_saveexec_b64 s[4:5], s[38:39]
	s_cbranch_execz .LBB62_14
; %bb.13:                               ;   in Loop: Header=BB62_10 Depth=2
	v_cvt_f32_u32_e32 v5, s36
	s_sub_i32 s38, 0, s36
	v_rcp_iflag_f32_e32 v5, v5
	v_mul_f32_e32 v5, 0x4f7ffffe, v5
	v_cvt_u32_f32_e32 v5, v5
	v_mul_lo_u32 v12, s38, v5
	v_mul_hi_u32 v12, v5, v12
	v_add_u32_e32 v5, v5, v12
	v_mul_hi_u32 v5, v10, v5
	v_mul_lo_u32 v12, v5, s36
	v_sub_u32_e32 v12, v10, v12
	v_add_u32_e32 v13, 1, v5
	v_subrev_u32_e32 v14, s36, v12
	v_cmp_le_u32_e32 vcc, s36, v12
	v_cndmask_b32_e32 v12, v12, v14, vcc
	v_cndmask_b32_e32 v5, v5, v13, vcc
	v_add_u32_e32 v13, 1, v5
	v_cmp_le_u32_e32 vcc, s36, v12
	v_cndmask_b32_e32 v12, v5, v13, vcc
	v_mov_b32_e32 v13, v4
.LBB62_14:                              ;   in Loop: Header=BB62_10 Depth=2
	s_or_b64 exec, exec, s[4:5]
	v_mad_u64_u32 v[14:15], s[4:5], v12, s36, 0
	s_load_dwordx2 s[4:5], s[34:35], 0xc8
	v_mul_lo_u32 v5, v13, s36
	v_mul_lo_u32 v16, v12, s37
	v_add3_u32 v5, v15, v16, v5
	v_sub_co_u32_e32 v10, vcc, v10, v14
	s_add_i32 s46, s46, -1
	v_subb_co_u32_e32 v5, vcc, v11, v5, vcc
	s_add_u32 s34, s34, -8
	s_waitcnt lgkmcnt(0)
	v_mul_lo_u32 v5, s4, v5
	v_mul_lo_u32 v11, s5, v10
	v_mad_u64_u32 v[8:9], s[4:5], s4, v10, v[8:9]
	s_addc_u32 s35, s35, -1
	s_cmp_gt_u32 s46, 2
	v_add3_u32 v9, v11, v9, v5
	s_cbranch_scc0 .LBB62_16
; %bb.15:                               ;   in Loop: Header=BB62_10 Depth=2
	v_pk_mov_b32 v[10:11], v[12:13], v[12:13] op_sel:[0,1]
	s_branch .LBB62_10
.LBB62_16:                              ;   in Loop: Header=BB62_9 Depth=1
	v_pk_mov_b32 v[10:11], s[24:25], s[24:25] op_sel:[0,1]
	v_mad_u64_u32 v[10:11], s[4:5], s22, v12, v[10:11]
	v_mul_lo_u32 v5, s22, v13
	v_mul_lo_u32 v12, s23, v12
	v_add3_u32 v5, v12, v11, v5
	v_add_co_u32_e32 v8, vcc, v10, v8
	v_addc_co_u32_e32 v9, vcc, v5, v9, vcc
	global_load_ubyte v5, v[8:9], off
	v_mov_b32_e32 v9, s27
	s_waitcnt vmcnt(0)
	v_and_b32_e32 v8, 0xffff, v5
	v_cmp_le_i64_e32 vcc, s[10:11], v[8:9]
	v_cmp_ge_i64_e64 s[4:5], s[12:13], v[8:9]
	s_and_b64 s[4:5], vcc, s[4:5]
	s_and_saveexec_b64 s[34:35], s[4:5]
	s_cbranch_execz .LBB62_8
; %bb.17:                               ;   in Loop: Header=BB62_9 Depth=1
	v_mov_b32_e32 v5, s11
	v_subrev_co_u32_e32 v8, vcc, s10, v8
	v_subb_co_u32_e32 v5, vcc, 0, v5, vcc
	v_mul_lo_u32 v5, v5, s8
	v_mul_lo_u32 v10, v8, s9
	v_mad_u64_u32 v[8:9], s[4:5], v8, s8, 0
	v_add3_u32 v9, v9, v10, v5
	v_or_b32_e32 v5, s44, v9
	v_cmp_ne_u64_e32 vcc, 0, v[4:5]
                                        ; implicit-def: $vgpr10_vgpr11
	s_and_saveexec_b64 s[4:5], vcc
	s_xor_b64 s[36:37], exec, s[4:5]
	s_cbranch_execz .LBB62_19
; %bb.18:                               ;   in Loop: Header=BB62_9 Depth=1
	s_ashr_i32 s38, s44, 31
	s_add_u32 s4, s33, s38
	s_mov_b32 s39, s38
	s_addc_u32 s5, s44, s38
	s_xor_b64 s[40:41], s[4:5], s[38:39]
	v_cvt_f32_u32_e32 v5, s40
	v_cvt_f32_u32_e32 v10, s41
	s_sub_u32 s4, 0, s40
	s_subb_u32 s5, 0, s41
	v_mac_f32_e32 v5, 0x4f800000, v10
	v_rcp_f32_e32 v5, v5
	v_mul_f32_e32 v5, 0x5f7ffffc, v5
	v_mul_f32_e32 v10, 0x2f800000, v5
	v_trunc_f32_e32 v10, v10
	v_mac_f32_e32 v5, 0xcf800000, v10
	v_cvt_u32_f32_e32 v10, v10
	v_cvt_u32_f32_e32 v5, v5
	v_mul_lo_u32 v11, s4, v10
	v_mul_hi_u32 v13, s4, v5
	v_mul_lo_u32 v12, s5, v5
	v_add_u32_e32 v11, v13, v11
	v_mul_lo_u32 v14, s4, v5
	v_add_u32_e32 v11, v11, v12
	v_mul_lo_u32 v13, v5, v11
	v_mul_hi_u32 v15, v5, v14
	v_mul_hi_u32 v12, v5, v11
	v_add_co_u32_e32 v13, vcc, v15, v13
	v_addc_co_u32_e32 v12, vcc, 0, v12, vcc
	v_mul_hi_u32 v16, v10, v14
	v_mul_lo_u32 v14, v10, v14
	v_add_co_u32_e32 v13, vcc, v13, v14
	v_mul_hi_u32 v15, v10, v11
	v_addc_co_u32_e32 v12, vcc, v12, v16, vcc
	v_addc_co_u32_e32 v13, vcc, 0, v15, vcc
	v_mul_lo_u32 v11, v10, v11
	v_add_co_u32_e32 v11, vcc, v12, v11
	v_addc_co_u32_e32 v12, vcc, 0, v13, vcc
	v_add_co_u32_e32 v5, vcc, v5, v11
	v_addc_co_u32_e32 v10, vcc, v10, v12, vcc
	v_mul_lo_u32 v11, s4, v10
	v_mul_hi_u32 v12, s4, v5
	v_add_u32_e32 v11, v12, v11
	v_mul_lo_u32 v12, s5, v5
	v_add_u32_e32 v11, v11, v12
	v_mul_lo_u32 v13, s4, v5
	v_mul_hi_u32 v14, v10, v13
	v_mul_lo_u32 v15, v10, v13
	v_mul_lo_u32 v17, v5, v11
	v_mul_hi_u32 v13, v5, v13
	v_mul_hi_u32 v16, v5, v11
	v_add_co_u32_e32 v13, vcc, v13, v17
	v_addc_co_u32_e32 v16, vcc, 0, v16, vcc
	v_add_co_u32_e32 v13, vcc, v13, v15
	v_mul_hi_u32 v12, v10, v11
	v_addc_co_u32_e32 v13, vcc, v16, v14, vcc
	v_addc_co_u32_e32 v12, vcc, 0, v12, vcc
	v_mul_lo_u32 v11, v10, v11
	v_add_co_u32_e32 v11, vcc, v13, v11
	v_addc_co_u32_e32 v12, vcc, 0, v12, vcc
	v_add_co_u32_e32 v5, vcc, v5, v11
	v_addc_co_u32_e32 v10, vcc, v10, v12, vcc
	v_ashrrev_i32_e32 v12, 31, v9
	v_add_co_u32_e32 v8, vcc, v8, v12
	v_addc_co_u32_e32 v9, vcc, v9, v12, vcc
	v_xor_b32_e32 v14, v8, v12
	v_xor_b32_e32 v13, v9, v12
	v_mad_u64_u32 v[8:9], s[4:5], v14, v10, 0
	v_mul_hi_u32 v11, v14, v5
	v_add_co_u32_e32 v15, vcc, v11, v8
	v_addc_co_u32_e32 v16, vcc, 0, v9, vcc
	v_mad_u64_u32 v[8:9], s[4:5], v13, v10, 0
	v_mad_u64_u32 v[10:11], s[4:5], v13, v5, 0
	v_add_co_u32_e32 v5, vcc, v15, v10
	v_addc_co_u32_e32 v5, vcc, v16, v11, vcc
	v_addc_co_u32_e32 v9, vcc, 0, v9, vcc
	v_add_co_u32_e32 v5, vcc, v5, v8
	v_addc_co_u32_e32 v8, vcc, 0, v9, vcc
	v_mul_lo_u32 v10, s41, v5
	v_mul_lo_u32 v11, s40, v8
	v_mad_u64_u32 v[8:9], s[4:5], s40, v5, 0
	v_add3_u32 v9, v9, v11, v10
	v_sub_u32_e32 v10, v13, v9
	v_mov_b32_e32 v11, s41
	v_sub_co_u32_e32 v8, vcc, v14, v8
	v_subb_co_u32_e64 v10, s[4:5], v10, v11, vcc
	v_subrev_co_u32_e64 v11, s[4:5], s40, v8
	v_subbrev_co_u32_e64 v10, s[4:5], 0, v10, s[4:5]
	v_cmp_le_u32_e64 s[4:5], s41, v10
	v_subb_co_u32_e32 v9, vcc, v13, v9, vcc
	v_cndmask_b32_e64 v14, 0, -1, s[4:5]
	v_cmp_le_u32_e64 s[4:5], s40, v11
	v_cmp_le_u32_e32 vcc, s41, v9
	v_cndmask_b32_e64 v11, 0, -1, s[4:5]
	v_cmp_eq_u32_e64 s[4:5], s41, v10
	v_cndmask_b32_e64 v13, 0, -1, vcc
	v_cmp_le_u32_e32 vcc, s40, v8
	v_cndmask_b32_e64 v10, v14, v11, s[4:5]
	v_cndmask_b32_e64 v8, 0, -1, vcc
	v_cmp_eq_u32_e32 vcc, s41, v9
	v_add_co_u32_e64 v11, s[4:5], 2, v5
	v_add_co_u32_e64 v14, s[4:5], 1, v5
	v_cndmask_b32_e32 v8, v13, v8, vcc
	v_cmp_ne_u32_e32 vcc, 0, v10
	v_cndmask_b32_e32 v9, v14, v11, vcc
	v_cmp_ne_u32_e32 vcc, 0, v8
	v_cndmask_b32_e32 v5, v5, v9, vcc
	v_xor_b32_e32 v8, s38, v12
	v_xor_b32_e32 v5, v5, v8
	v_sub_co_u32_e32 v10, vcc, v5, v8
                                        ; implicit-def: $vgpr8_vgpr9
.LBB62_19:                              ;   in Loop: Header=BB62_9 Depth=1
	s_andn2_saveexec_b64 s[4:5], s[36:37]
	s_cbranch_execz .LBB62_21
; %bb.20:                               ;   in Loop: Header=BB62_9 Depth=1
	v_cvt_f32_u32_e32 v5, s33
	s_sub_i32 s36, 0, s33
	v_rcp_iflag_f32_e32 v5, v5
	v_mul_f32_e32 v5, 0x4f7ffffe, v5
	v_cvt_u32_f32_e32 v5, v5
	v_mul_lo_u32 v9, s36, v5
	v_mul_hi_u32 v9, v5, v9
	v_add_u32_e32 v5, v5, v9
	v_mul_hi_u32 v5, v8, v5
	v_mul_lo_u32 v9, v5, s33
	v_sub_u32_e32 v8, v8, v9
	v_add_u32_e32 v10, 1, v5
	v_subrev_u32_e32 v9, s33, v8
	v_cmp_le_u32_e32 vcc, s33, v8
	v_cndmask_b32_e32 v8, v8, v9, vcc
	v_cndmask_b32_e32 v5, v5, v10, vcc
	v_add_u32_e32 v9, 1, v5
	v_cmp_le_u32_e32 vcc, s33, v8
	v_cndmask_b32_e32 v10, v5, v9, vcc
.LBB62_21:                              ;   in Loop: Header=BB62_9 Depth=1
	s_or_b64 exec, exec, s[4:5]
	v_ashrrev_i32_e32 v11, 31, v10
	v_cmp_eq_u64_e32 vcc, s[8:9], v[10:11]
	v_subbrev_co_u32_e32 v5, vcc, 0, v10, vcc
	v_add_u32_e32 v10, 0, v5
	v_and_b32_e32 v8, -4, v10
	ds_read_b32 v9, v8
	v_and_b32_e32 v5, 3, v10
	v_sub_u32_e32 v11, 0, v5
	v_lshlrev_b32_e32 v5, 3, v5
	v_lshlrev_b32_e64 v8, v5, s26
	v_not_b32_e32 v8, v8
	s_mov_b64 s[4:5], 0
	v_add_u32_e32 v10, v10, v11
.LBB62_22:                              ;   Parent Loop BB62_9 Depth=1
                                        ; =>  This Inner Loop Header: Depth=2
	s_waitcnt lgkmcnt(0)
	v_lshrrev_b32_e32 v11, v5, v9
	v_add_u32_e32 v11, 1, v11
	v_and_b32_e32 v12, v9, v8
	v_and_b32_e32 v11, 0xff, v11
	v_lshl_or_b32 v11, v11, v5, v12
	ds_cmpst_rtn_b32 v11, v10, v9, v11
	s_waitcnt lgkmcnt(0)
	v_cmp_eq_u32_e32 vcc, v9, v11
	s_or_b64 s[4:5], vcc, s[4:5]
	v_mov_b32_e32 v9, v11
	s_andn2_b64 exec, exec, s[4:5]
	s_cbranch_execnz .LBB62_22
	s_branch .LBB62_8
.LBB62_23:
	s_or_b64 exec, exec, s[6:7]
; %bb.24:
	s_barrier
	s_and_saveexec_b64 s[2:3], s[0:1]
	s_cbranch_execz .LBB62_29
; %bb.25:
	v_and_b32_e32 v2, 0xffff, v7
	s_mov_b64 s[0:1], 0
	v_pk_mov_b32 v[4:5], s[16:17], s[16:17] op_sel:[0,1]
	s_movk_i32 s4, 0xff
.LBB62_26:                              ; =>This Loop Header: Depth=1
                                        ;     Child Loop BB62_27 Depth 2
	v_mad_u64_u32 v[8:9], s[2:3], v0, s20, v[4:5]
	v_mul_lo_u32 v3, v0, s21
	v_mul_lo_u32 v6, v1, s20
	v_add3_u32 v7, v6, v9, v3
	v_and_b32_e32 v6, -4, v8
	global_load_dword v9, v[6:7], off
	v_add_u32_e32 v3, 0, v0
	ds_read_u8 v3, v3
	v_and_b32_e32 v8, 3, v8
	v_lshlrev_b32_e32 v10, 3, v8
	v_lshlrev_b32_e64 v8, v10, s4
	v_not_b32_e32 v11, v8
	s_mov_b64 s[2:3], 0
.LBB62_27:                              ;   Parent Loop BB62_26 Depth=1
                                        ; =>  This Inner Loop Header: Depth=2
	s_waitcnt vmcnt(0)
	v_lshrrev_b32_e32 v8, v10, v9
	s_waitcnt lgkmcnt(0)
	v_add_u16_e32 v8, v3, v8
	v_and_b32_e32 v12, v9, v11
	v_and_b32_e32 v8, 0xff, v8
	v_lshl_or_b32 v8, v8, v10, v12
	global_atomic_cmpswap v8, v[6:7], v[8:9], off glc
	s_waitcnt vmcnt(0)
	v_cmp_eq_u32_e32 vcc, v9, v8
	s_or_b64 s[2:3], vcc, s[2:3]
	v_mov_b32_e32 v9, v8
	s_andn2_b64 exec, exec, s[2:3]
	s_cbranch_execnz .LBB62_27
; %bb.28:                               ;   in Loop: Header=BB62_26 Depth=1
	s_or_b64 exec, exec, s[2:3]
	v_add_co_u32_e32 v0, vcc, v0, v2
	v_addc_co_u32_e32 v1, vcc, 0, v1, vcc
	v_cmp_le_i64_e32 vcc, s[18:19], v[0:1]
	s_or_b64 s[0:1], vcc, s[0:1]
	s_andn2_b64 exec, exec, s[0:1]
	s_cbranch_execnz .LBB62_26
.LBB62_29:
	s_endpgm
	.section	.rodata,"a",@progbits
	.p2align	6, 0x0
	.amdhsa_kernel _ZN2at4cuda17kernelHistogram1DIhhlLi1ELi2ELin1ELNS0_23CUDAHistogramMemoryTypeE0EZNS0_21CUDA_tensor_histogramIhhLb0EEEbNS_6TensorES4_S4_lNS_14AccumulateTypeIT0_Lb1EE4typeES8_NS0_13TensorArgTypeES9_S9_EUllE0_EEvNS0_6detail10TensorInfoIT_T1_EESF_NSC_IKS6_SE_EElS8_S8_SE_T6_
		.amdhsa_group_segment_fixed_size 0
		.amdhsa_private_segment_fixed_size 0
		.amdhsa_kernarg_size 1544
		.amdhsa_user_sgpr_count 6
		.amdhsa_user_sgpr_private_segment_buffer 1
		.amdhsa_user_sgpr_dispatch_ptr 0
		.amdhsa_user_sgpr_queue_ptr 0
		.amdhsa_user_sgpr_kernarg_segment_ptr 1
		.amdhsa_user_sgpr_dispatch_id 0
		.amdhsa_user_sgpr_flat_scratch_init 0
		.amdhsa_user_sgpr_kernarg_preload_length 0
		.amdhsa_user_sgpr_kernarg_preload_offset 0
		.amdhsa_user_sgpr_private_segment_size 0
		.amdhsa_uses_dynamic_stack 0
		.amdhsa_system_sgpr_private_segment_wavefront_offset 0
		.amdhsa_system_sgpr_workgroup_id_x 1
		.amdhsa_system_sgpr_workgroup_id_y 0
		.amdhsa_system_sgpr_workgroup_id_z 0
		.amdhsa_system_sgpr_workgroup_info 0
		.amdhsa_system_vgpr_workitem_id 0
		.amdhsa_next_free_vgpr 22
		.amdhsa_next_free_sgpr 47
		.amdhsa_accum_offset 24
		.amdhsa_reserve_vcc 1
		.amdhsa_reserve_flat_scratch 0
		.amdhsa_float_round_mode_32 0
		.amdhsa_float_round_mode_16_64 0
		.amdhsa_float_denorm_mode_32 3
		.amdhsa_float_denorm_mode_16_64 3
		.amdhsa_dx10_clamp 1
		.amdhsa_ieee_mode 1
		.amdhsa_fp16_overflow 0
		.amdhsa_tg_split 0
		.amdhsa_exception_fp_ieee_invalid_op 0
		.amdhsa_exception_fp_denorm_src 0
		.amdhsa_exception_fp_ieee_div_zero 0
		.amdhsa_exception_fp_ieee_overflow 0
		.amdhsa_exception_fp_ieee_underflow 0
		.amdhsa_exception_fp_ieee_inexact 0
		.amdhsa_exception_int_div_zero 0
	.end_amdhsa_kernel
	.section	.text._ZN2at4cuda17kernelHistogram1DIhhlLi1ELi2ELin1ELNS0_23CUDAHistogramMemoryTypeE0EZNS0_21CUDA_tensor_histogramIhhLb0EEEbNS_6TensorES4_S4_lNS_14AccumulateTypeIT0_Lb1EE4typeES8_NS0_13TensorArgTypeES9_S9_EUllE0_EEvNS0_6detail10TensorInfoIT_T1_EESF_NSC_IKS6_SE_EElS8_S8_SE_T6_,"axG",@progbits,_ZN2at4cuda17kernelHistogram1DIhhlLi1ELi2ELin1ELNS0_23CUDAHistogramMemoryTypeE0EZNS0_21CUDA_tensor_histogramIhhLb0EEEbNS_6TensorES4_S4_lNS_14AccumulateTypeIT0_Lb1EE4typeES8_NS0_13TensorArgTypeES9_S9_EUllE0_EEvNS0_6detail10TensorInfoIT_T1_EESF_NSC_IKS6_SE_EElS8_S8_SE_T6_,comdat
.Lfunc_end62:
	.size	_ZN2at4cuda17kernelHistogram1DIhhlLi1ELi2ELin1ELNS0_23CUDAHistogramMemoryTypeE0EZNS0_21CUDA_tensor_histogramIhhLb0EEEbNS_6TensorES4_S4_lNS_14AccumulateTypeIT0_Lb1EE4typeES8_NS0_13TensorArgTypeES9_S9_EUllE0_EEvNS0_6detail10TensorInfoIT_T1_EESF_NSC_IKS6_SE_EElS8_S8_SE_T6_, .Lfunc_end62-_ZN2at4cuda17kernelHistogram1DIhhlLi1ELi2ELin1ELNS0_23CUDAHistogramMemoryTypeE0EZNS0_21CUDA_tensor_histogramIhhLb0EEEbNS_6TensorES4_S4_lNS_14AccumulateTypeIT0_Lb1EE4typeES8_NS0_13TensorArgTypeES9_S9_EUllE0_EEvNS0_6detail10TensorInfoIT_T1_EESF_NSC_IKS6_SE_EElS8_S8_SE_T6_
                                        ; -- End function
	.section	.AMDGPU.csdata,"",@progbits
; Kernel info:
; codeLenInByte = 2612
; NumSgprs: 51
; NumVgprs: 22
; NumAgprs: 0
; TotalNumVgprs: 22
; ScratchSize: 0
; MemoryBound: 0
; FloatMode: 240
; IeeeMode: 1
; LDSByteSize: 0 bytes/workgroup (compile time only)
; SGPRBlocks: 6
; VGPRBlocks: 2
; NumSGPRsForWavesPerEU: 51
; NumVGPRsForWavesPerEU: 22
; AccumOffset: 24
; Occupancy: 8
; WaveLimiterHint : 1
; COMPUTE_PGM_RSRC2:SCRATCH_EN: 0
; COMPUTE_PGM_RSRC2:USER_SGPR: 6
; COMPUTE_PGM_RSRC2:TRAP_HANDLER: 0
; COMPUTE_PGM_RSRC2:TGID_X_EN: 1
; COMPUTE_PGM_RSRC2:TGID_Y_EN: 0
; COMPUTE_PGM_RSRC2:TGID_Z_EN: 0
; COMPUTE_PGM_RSRC2:TIDIG_COMP_CNT: 0
; COMPUTE_PGM_RSRC3_GFX90A:ACCUM_OFFSET: 5
; COMPUTE_PGM_RSRC3_GFX90A:TG_SPLIT: 0
	.section	.text._ZN2at4cuda17kernelHistogram1DIhhlLi1ELi2ELin1ELNS0_23CUDAHistogramMemoryTypeE1EZNS0_21CUDA_tensor_histogramIhhLb0EEEbNS_6TensorES4_S4_lNS_14AccumulateTypeIT0_Lb1EE4typeES8_NS0_13TensorArgTypeES9_S9_EUllE0_EEvNS0_6detail10TensorInfoIT_T1_EESF_NSC_IKS6_SE_EElS8_S8_SE_T6_,"axG",@progbits,_ZN2at4cuda17kernelHistogram1DIhhlLi1ELi2ELin1ELNS0_23CUDAHistogramMemoryTypeE1EZNS0_21CUDA_tensor_histogramIhhLb0EEEbNS_6TensorES4_S4_lNS_14AccumulateTypeIT0_Lb1EE4typeES8_NS0_13TensorArgTypeES9_S9_EUllE0_EEvNS0_6detail10TensorInfoIT_T1_EESF_NSC_IKS6_SE_EElS8_S8_SE_T6_,comdat
	.protected	_ZN2at4cuda17kernelHistogram1DIhhlLi1ELi2ELin1ELNS0_23CUDAHistogramMemoryTypeE1EZNS0_21CUDA_tensor_histogramIhhLb0EEEbNS_6TensorES4_S4_lNS_14AccumulateTypeIT0_Lb1EE4typeES8_NS0_13TensorArgTypeES9_S9_EUllE0_EEvNS0_6detail10TensorInfoIT_T1_EESF_NSC_IKS6_SE_EElS8_S8_SE_T6_ ; -- Begin function _ZN2at4cuda17kernelHistogram1DIhhlLi1ELi2ELin1ELNS0_23CUDAHistogramMemoryTypeE1EZNS0_21CUDA_tensor_histogramIhhLb0EEEbNS_6TensorES4_S4_lNS_14AccumulateTypeIT0_Lb1EE4typeES8_NS0_13TensorArgTypeES9_S9_EUllE0_EEvNS0_6detail10TensorInfoIT_T1_EESF_NSC_IKS6_SE_EElS8_S8_SE_T6_
	.globl	_ZN2at4cuda17kernelHistogram1DIhhlLi1ELi2ELin1ELNS0_23CUDAHistogramMemoryTypeE1EZNS0_21CUDA_tensor_histogramIhhLb0EEEbNS_6TensorES4_S4_lNS_14AccumulateTypeIT0_Lb1EE4typeES8_NS0_13TensorArgTypeES9_S9_EUllE0_EEvNS0_6detail10TensorInfoIT_T1_EESF_NSC_IKS6_SE_EElS8_S8_SE_T6_
	.p2align	8
	.type	_ZN2at4cuda17kernelHistogram1DIhhlLi1ELi2ELin1ELNS0_23CUDAHistogramMemoryTypeE1EZNS0_21CUDA_tensor_histogramIhhLb0EEEbNS_6TensorES4_S4_lNS_14AccumulateTypeIT0_Lb1EE4typeES8_NS0_13TensorArgTypeES9_S9_EUllE0_EEvNS0_6detail10TensorInfoIT_T1_EESF_NSC_IKS6_SE_EElS8_S8_SE_T6_,@function
_ZN2at4cuda17kernelHistogram1DIhhlLi1ELi2ELin1ELNS0_23CUDAHistogramMemoryTypeE1EZNS0_21CUDA_tensor_histogramIhhLb0EEEbNS_6TensorES4_S4_lNS_14AccumulateTypeIT0_Lb1EE4typeES8_NS0_13TensorArgTypeES9_S9_EUllE0_EEvNS0_6detail10TensorInfoIT_T1_EESF_NSC_IKS6_SE_EElS8_S8_SE_T6_: ; @_ZN2at4cuda17kernelHistogram1DIhhlLi1ELi2ELin1ELNS0_23CUDAHistogramMemoryTypeE1EZNS0_21CUDA_tensor_histogramIhhLb0EEEbNS_6TensorES4_S4_lNS_14AccumulateTypeIT0_Lb1EE4typeES8_NS0_13TensorArgTypeES9_S9_EUllE0_EEvNS0_6detail10TensorInfoIT_T1_EESF_NSC_IKS6_SE_EElS8_S8_SE_T6_
; %bb.0:
	s_load_dword s2, s[4:5], 0x514
	s_load_dwordx8 s[8:15], s[4:5], 0x4e0
	s_add_u32 s0, s4, 0x508
	s_addc_u32 s1, s5, 0
	v_mov_b32_e32 v2, 0
	s_waitcnt lgkmcnt(0)
	s_and_b32 s2, s2, 0xffff
	s_mul_i32 s6, s6, s2
	v_add_u32_e32 v0, s6, v0
	v_mov_b32_e32 v1, v2
	v_cmp_gt_i64_e32 vcc, s[14:15], v[0:1]
	s_and_saveexec_b64 s[6:7], vcc
	s_cbranch_execz .LBB63_17
; %bb.1:
	s_load_dword s3, s[4:5], 0x4d8
	s_load_dwordx2 s[6:7], s[4:5], 0x0
	s_load_dwordx2 s[16:17], s[4:5], 0xd0
	s_load_dword s24, s[0:1], 0x0
	s_add_u32 s22, s4, 0x340
	s_addc_u32 s23, s5, 0
	s_mov_b32 s38, 0
	s_waitcnt lgkmcnt(0)
	s_cmp_gt_i32 s3, 1
	s_cselect_b64 s[0:1], -1, 0
	s_sub_u32 s33, s12, s10
	s_subb_u32 s36, s13, s11
	s_mul_i32 s37, s24, s2
	s_add_i32 s39, s3, 1
	s_add_i32 s2, s3, -1
	s_mov_b32 s3, s38
	s_load_dwordx2 s[18:19], s[4:5], 0x410
	s_load_dwordx2 s[20:21], s[4:5], 0x340
	s_lshl_b64 s[2:3], s[2:3], 3
	s_add_u32 s2, s2, s22
	s_addc_u32 s3, s3, s23
	s_add_u32 s4, s2, 8
	v_cndmask_b32_e64 v3, 0, 1, s[0:1]
	s_addc_u32 s5, s3, 0
	s_mov_b64 s[22:23], 0
	v_cmp_ne_u32_e64 s[0:1], 1, v3
	s_movk_i32 s40, 0xff
	s_branch .LBB63_3
.LBB63_2:                               ;   in Loop: Header=BB63_3 Depth=1
	s_or_b64 exec, exec, s[24:25]
	v_mov_b32_e32 v3, s38
	v_add_co_u32_e32 v0, vcc, s37, v0
	v_addc_co_u32_e32 v1, vcc, v1, v3, vcc
	v_cmp_le_i64_e32 vcc, s[14:15], v[0:1]
	s_or_b64 s[22:23], vcc, s[22:23]
	s_andn2_b64 exec, exec, s[22:23]
	s_cbranch_execz .LBB63_17
.LBB63_3:                               ; =>This Loop Header: Depth=1
                                        ;     Child Loop BB63_4 Depth 2
                                        ;     Child Loop BB63_16 Depth 2
	s_and_b64 vcc, exec, s[0:1]
	v_pk_mov_b32 v[4:5], 0, 0
	s_mov_b64 s[24:25], s[4:5]
	s_mov_b32 s41, s39
	v_pk_mov_b32 v[6:7], v[0:1], v[0:1] op_sel:[0,1]
	v_pk_mov_b32 v[8:9], v[0:1], v[0:1] op_sel:[0,1]
	s_cbranch_vccnz .LBB63_10
.LBB63_4:                               ;   Parent Loop BB63_3 Depth=1
                                        ; =>  This Inner Loop Header: Depth=2
	s_load_dwordx2 s[26:27], s[24:25], 0x0
                                        ; implicit-def: $vgpr8_vgpr9
	s_waitcnt lgkmcnt(0)
	v_or_b32_e32 v3, s27, v7
	v_cmp_ne_u64_e32 vcc, 0, v[2:3]
	s_and_saveexec_b64 s[2:3], vcc
	s_xor_b64 s[28:29], exec, s[2:3]
	s_cbranch_execz .LBB63_6
; %bb.5:                                ;   in Loop: Header=BB63_4 Depth=2
	s_ashr_i32 s30, s27, 31
	s_add_u32 s2, s26, s30
	s_mov_b32 s31, s30
	s_addc_u32 s3, s27, s30
	s_xor_b64 s[34:35], s[2:3], s[30:31]
	v_cvt_f32_u32_e32 v3, s34
	v_cvt_f32_u32_e32 v8, s35
	s_sub_u32 s2, 0, s34
	s_subb_u32 s3, 0, s35
	v_mac_f32_e32 v3, 0x4f800000, v8
	v_rcp_f32_e32 v3, v3
	v_mul_f32_e32 v3, 0x5f7ffffc, v3
	v_mul_f32_e32 v8, 0x2f800000, v3
	v_trunc_f32_e32 v8, v8
	v_mac_f32_e32 v3, 0xcf800000, v8
	v_cvt_u32_f32_e32 v8, v8
	v_cvt_u32_f32_e32 v3, v3
	v_mul_lo_u32 v9, s2, v8
	v_mul_hi_u32 v11, s2, v3
	v_mul_lo_u32 v10, s3, v3
	v_add_u32_e32 v9, v11, v9
	v_mul_lo_u32 v12, s2, v3
	v_add_u32_e32 v9, v9, v10
	v_mul_lo_u32 v11, v3, v9
	v_mul_hi_u32 v13, v3, v12
	v_mul_hi_u32 v10, v3, v9
	v_add_co_u32_e32 v11, vcc, v13, v11
	v_addc_co_u32_e32 v10, vcc, 0, v10, vcc
	v_mul_hi_u32 v14, v8, v12
	v_mul_lo_u32 v12, v8, v12
	v_add_co_u32_e32 v11, vcc, v11, v12
	v_mul_hi_u32 v13, v8, v9
	v_addc_co_u32_e32 v10, vcc, v10, v14, vcc
	v_addc_co_u32_e32 v11, vcc, 0, v13, vcc
	v_mul_lo_u32 v9, v8, v9
	v_add_co_u32_e32 v9, vcc, v10, v9
	v_addc_co_u32_e32 v10, vcc, 0, v11, vcc
	v_add_co_u32_e32 v3, vcc, v3, v9
	v_addc_co_u32_e32 v8, vcc, v8, v10, vcc
	v_mul_lo_u32 v9, s2, v8
	v_mul_hi_u32 v10, s2, v3
	v_add_u32_e32 v9, v10, v9
	v_mul_lo_u32 v10, s3, v3
	v_add_u32_e32 v9, v9, v10
	v_mul_lo_u32 v11, s2, v3
	v_mul_hi_u32 v12, v8, v11
	v_mul_lo_u32 v13, v8, v11
	v_mul_lo_u32 v15, v3, v9
	v_mul_hi_u32 v11, v3, v11
	v_mul_hi_u32 v14, v3, v9
	v_add_co_u32_e32 v11, vcc, v11, v15
	v_addc_co_u32_e32 v14, vcc, 0, v14, vcc
	v_add_co_u32_e32 v11, vcc, v11, v13
	v_mul_hi_u32 v10, v8, v9
	v_addc_co_u32_e32 v11, vcc, v14, v12, vcc
	v_addc_co_u32_e32 v10, vcc, 0, v10, vcc
	v_mul_lo_u32 v9, v8, v9
	v_add_co_u32_e32 v9, vcc, v11, v9
	v_addc_co_u32_e32 v10, vcc, 0, v10, vcc
	v_add_co_u32_e32 v3, vcc, v3, v9
	v_addc_co_u32_e32 v10, vcc, v8, v10, vcc
	v_ashrrev_i32_e32 v12, 31, v7
	v_add_co_u32_e32 v8, vcc, v6, v12
	v_addc_co_u32_e32 v9, vcc, v7, v12, vcc
	v_xor_b32_e32 v14, v8, v12
	v_xor_b32_e32 v13, v9, v12
	v_mad_u64_u32 v[8:9], s[2:3], v14, v10, 0
	v_mul_hi_u32 v11, v14, v3
	v_add_co_u32_e32 v15, vcc, v11, v8
	v_addc_co_u32_e32 v16, vcc, 0, v9, vcc
	v_mad_u64_u32 v[8:9], s[2:3], v13, v10, 0
	v_mad_u64_u32 v[10:11], s[2:3], v13, v3, 0
	v_add_co_u32_e32 v3, vcc, v15, v10
	v_addc_co_u32_e32 v3, vcc, v16, v11, vcc
	v_addc_co_u32_e32 v9, vcc, 0, v9, vcc
	v_add_co_u32_e32 v3, vcc, v3, v8
	v_addc_co_u32_e32 v10, vcc, 0, v9, vcc
	v_mul_lo_u32 v11, s35, v3
	v_mul_lo_u32 v15, s34, v10
	v_mad_u64_u32 v[8:9], s[2:3], s34, v3, 0
	v_add3_u32 v9, v9, v15, v11
	v_sub_u32_e32 v11, v13, v9
	v_mov_b32_e32 v15, s35
	v_sub_co_u32_e32 v8, vcc, v14, v8
	v_subb_co_u32_e64 v11, s[2:3], v11, v15, vcc
	v_subrev_co_u32_e64 v14, s[2:3], s34, v8
	v_subbrev_co_u32_e64 v11, s[2:3], 0, v11, s[2:3]
	v_cmp_le_u32_e64 s[2:3], s35, v11
	v_cndmask_b32_e64 v15, 0, -1, s[2:3]
	v_cmp_le_u32_e64 s[2:3], s34, v14
	v_cndmask_b32_e64 v14, 0, -1, s[2:3]
	v_cmp_eq_u32_e64 s[2:3], s35, v11
	v_cndmask_b32_e64 v11, v15, v14, s[2:3]
	v_add_co_u32_e64 v14, s[2:3], 2, v3
	v_subb_co_u32_e32 v9, vcc, v13, v9, vcc
	v_addc_co_u32_e64 v15, s[2:3], 0, v10, s[2:3]
	v_cmp_le_u32_e32 vcc, s35, v9
	v_add_co_u32_e64 v16, s[2:3], 1, v3
	v_cndmask_b32_e64 v13, 0, -1, vcc
	v_cmp_le_u32_e32 vcc, s34, v8
	v_addc_co_u32_e64 v17, s[2:3], 0, v10, s[2:3]
	v_cndmask_b32_e64 v8, 0, -1, vcc
	v_cmp_eq_u32_e32 vcc, s35, v9
	v_cmp_ne_u32_e64 s[2:3], 0, v11
	v_cndmask_b32_e32 v8, v13, v8, vcc
	v_cmp_ne_u32_e32 vcc, 0, v8
	v_cndmask_b32_e64 v9, v16, v14, s[2:3]
	v_cndmask_b32_e64 v11, v17, v15, s[2:3]
	v_cndmask_b32_e32 v3, v3, v9, vcc
	v_xor_b32_e32 v9, s30, v12
	v_cndmask_b32_e32 v8, v10, v11, vcc
	v_xor_b32_e32 v3, v3, v9
	v_xor_b32_e32 v10, v8, v9
	v_sub_co_u32_e32 v8, vcc, v3, v9
	v_subb_co_u32_e32 v9, vcc, v10, v9, vcc
.LBB63_6:                               ;   in Loop: Header=BB63_4 Depth=2
	s_andn2_saveexec_b64 s[2:3], s[28:29]
	s_cbranch_execz .LBB63_8
; %bb.7:                                ;   in Loop: Header=BB63_4 Depth=2
	v_cvt_f32_u32_e32 v3, s26
	s_sub_i32 s28, 0, s26
	v_rcp_iflag_f32_e32 v3, v3
	v_mul_f32_e32 v3, 0x4f7ffffe, v3
	v_cvt_u32_f32_e32 v3, v3
	v_mul_lo_u32 v8, s28, v3
	v_mul_hi_u32 v8, v3, v8
	v_add_u32_e32 v3, v3, v8
	v_mul_hi_u32 v3, v6, v3
	v_mul_lo_u32 v8, v3, s26
	v_sub_u32_e32 v8, v6, v8
	v_add_u32_e32 v9, 1, v3
	v_subrev_u32_e32 v10, s26, v8
	v_cmp_le_u32_e32 vcc, s26, v8
	v_cndmask_b32_e32 v8, v8, v10, vcc
	v_cndmask_b32_e32 v3, v3, v9, vcc
	v_add_u32_e32 v9, 1, v3
	v_cmp_le_u32_e32 vcc, s26, v8
	v_cndmask_b32_e32 v8, v3, v9, vcc
	v_mov_b32_e32 v9, v2
.LBB63_8:                               ;   in Loop: Header=BB63_4 Depth=2
	s_or_b64 exec, exec, s[2:3]
	v_mad_u64_u32 v[10:11], s[2:3], v8, s26, 0
	s_load_dwordx2 s[2:3], s[24:25], 0xc8
	v_mul_lo_u32 v3, v9, s26
	v_mul_lo_u32 v12, v8, s27
	v_add3_u32 v3, v11, v12, v3
	v_sub_co_u32_e32 v6, vcc, v6, v10
	s_add_i32 s41, s41, -1
	v_subb_co_u32_e32 v3, vcc, v7, v3, vcc
	s_add_u32 s24, s24, -8
	s_waitcnt lgkmcnt(0)
	v_mul_lo_u32 v3, s2, v3
	v_mul_lo_u32 v7, s3, v6
	v_mad_u64_u32 v[4:5], s[2:3], s2, v6, v[4:5]
	s_addc_u32 s25, s25, -1
	s_cmp_gt_u32 s41, 2
	v_add3_u32 v5, v7, v5, v3
	s_cbranch_scc0 .LBB63_10
; %bb.9:                                ;   in Loop: Header=BB63_4 Depth=2
	v_pk_mov_b32 v[6:7], v[8:9], v[8:9] op_sel:[0,1]
	s_branch .LBB63_4
.LBB63_10:                              ;   in Loop: Header=BB63_3 Depth=1
	s_waitcnt lgkmcnt(0)
	v_pk_mov_b32 v[6:7], s[20:21], s[20:21] op_sel:[0,1]
	v_mad_u64_u32 v[6:7], s[2:3], s18, v8, v[6:7]
	v_mul_lo_u32 v3, s18, v9
	v_mul_lo_u32 v8, s19, v8
	v_add3_u32 v3, v8, v7, v3
	v_add_co_u32_e32 v4, vcc, v6, v4
	v_addc_co_u32_e32 v5, vcc, v3, v5, vcc
	global_load_ubyte v3, v[4:5], off
	v_mov_b32_e32 v5, s38
	s_waitcnt vmcnt(0)
	v_and_b32_e32 v4, 0xffff, v3
	v_cmp_le_i64_e32 vcc, s[10:11], v[4:5]
	v_cmp_ge_i64_e64 s[2:3], s[12:13], v[4:5]
	s_and_b64 s[2:3], vcc, s[2:3]
	s_and_saveexec_b64 s[24:25], s[2:3]
	s_cbranch_execz .LBB63_2
; %bb.11:                               ;   in Loop: Header=BB63_3 Depth=1
	v_mov_b32_e32 v3, s11
	v_subrev_co_u32_e32 v4, vcc, s10, v4
	v_subb_co_u32_e32 v3, vcc, 0, v3, vcc
	v_mul_lo_u32 v3, v3, s8
	v_mul_lo_u32 v6, v4, s9
	v_mad_u64_u32 v[4:5], s[2:3], v4, s8, 0
	v_add3_u32 v5, v5, v6, v3
	v_or_b32_e32 v3, s36, v5
	v_cmp_ne_u64_e32 vcc, 0, v[2:3]
                                        ; implicit-def: $vgpr6_vgpr7
	s_and_saveexec_b64 s[2:3], vcc
	s_xor_b64 s[26:27], exec, s[2:3]
	s_cbranch_execz .LBB63_13
; %bb.12:                               ;   in Loop: Header=BB63_3 Depth=1
	s_ashr_i32 s28, s36, 31
	s_add_u32 s2, s33, s28
	s_mov_b32 s29, s28
	s_addc_u32 s3, s36, s28
	s_xor_b64 s[30:31], s[2:3], s[28:29]
	v_cvt_f32_u32_e32 v3, s30
	v_cvt_f32_u32_e32 v6, s31
	s_sub_u32 s2, 0, s30
	s_subb_u32 s3, 0, s31
	v_mac_f32_e32 v3, 0x4f800000, v6
	v_rcp_f32_e32 v3, v3
	v_mul_f32_e32 v3, 0x5f7ffffc, v3
	v_mul_f32_e32 v6, 0x2f800000, v3
	v_trunc_f32_e32 v6, v6
	v_mac_f32_e32 v3, 0xcf800000, v6
	v_cvt_u32_f32_e32 v6, v6
	v_cvt_u32_f32_e32 v3, v3
	v_mul_lo_u32 v7, s2, v6
	v_mul_hi_u32 v9, s2, v3
	v_mul_lo_u32 v8, s3, v3
	v_add_u32_e32 v7, v9, v7
	v_mul_lo_u32 v10, s2, v3
	v_add_u32_e32 v7, v7, v8
	v_mul_lo_u32 v9, v3, v7
	v_mul_hi_u32 v11, v3, v10
	v_mul_hi_u32 v8, v3, v7
	v_add_co_u32_e32 v9, vcc, v11, v9
	v_addc_co_u32_e32 v8, vcc, 0, v8, vcc
	v_mul_hi_u32 v12, v6, v10
	v_mul_lo_u32 v10, v6, v10
	v_add_co_u32_e32 v9, vcc, v9, v10
	v_mul_hi_u32 v11, v6, v7
	v_addc_co_u32_e32 v8, vcc, v8, v12, vcc
	v_addc_co_u32_e32 v9, vcc, 0, v11, vcc
	v_mul_lo_u32 v7, v6, v7
	v_add_co_u32_e32 v7, vcc, v8, v7
	v_addc_co_u32_e32 v8, vcc, 0, v9, vcc
	v_add_co_u32_e32 v3, vcc, v3, v7
	v_addc_co_u32_e32 v6, vcc, v6, v8, vcc
	v_mul_lo_u32 v7, s2, v6
	v_mul_hi_u32 v8, s2, v3
	v_add_u32_e32 v7, v8, v7
	v_mul_lo_u32 v8, s3, v3
	v_add_u32_e32 v7, v7, v8
	v_mul_lo_u32 v9, s2, v3
	v_mul_hi_u32 v10, v6, v9
	v_mul_lo_u32 v11, v6, v9
	v_mul_lo_u32 v13, v3, v7
	v_mul_hi_u32 v9, v3, v9
	v_mul_hi_u32 v12, v3, v7
	v_add_co_u32_e32 v9, vcc, v9, v13
	v_addc_co_u32_e32 v12, vcc, 0, v12, vcc
	v_add_co_u32_e32 v9, vcc, v9, v11
	v_mul_hi_u32 v8, v6, v7
	v_addc_co_u32_e32 v9, vcc, v12, v10, vcc
	v_addc_co_u32_e32 v8, vcc, 0, v8, vcc
	v_mul_lo_u32 v7, v6, v7
	v_add_co_u32_e32 v7, vcc, v9, v7
	v_addc_co_u32_e32 v8, vcc, 0, v8, vcc
	v_add_co_u32_e32 v3, vcc, v3, v7
	v_addc_co_u32_e32 v6, vcc, v6, v8, vcc
	v_ashrrev_i32_e32 v8, 31, v5
	v_add_co_u32_e32 v4, vcc, v4, v8
	v_addc_co_u32_e32 v5, vcc, v5, v8, vcc
	v_xor_b32_e32 v10, v4, v8
	v_xor_b32_e32 v9, v5, v8
	v_mad_u64_u32 v[4:5], s[2:3], v10, v6, 0
	v_mul_hi_u32 v7, v10, v3
	v_add_co_u32_e32 v11, vcc, v7, v4
	v_addc_co_u32_e32 v12, vcc, 0, v5, vcc
	v_mad_u64_u32 v[4:5], s[2:3], v9, v6, 0
	v_mad_u64_u32 v[6:7], s[2:3], v9, v3, 0
	v_add_co_u32_e32 v3, vcc, v11, v6
	v_addc_co_u32_e32 v3, vcc, v12, v7, vcc
	v_addc_co_u32_e32 v5, vcc, 0, v5, vcc
	v_add_co_u32_e32 v3, vcc, v3, v4
	v_addc_co_u32_e32 v4, vcc, 0, v5, vcc
	v_mul_lo_u32 v6, s31, v3
	v_mul_lo_u32 v7, s30, v4
	v_mad_u64_u32 v[4:5], s[2:3], s30, v3, 0
	v_add3_u32 v5, v5, v7, v6
	v_sub_u32_e32 v6, v9, v5
	v_mov_b32_e32 v7, s31
	v_sub_co_u32_e32 v4, vcc, v10, v4
	v_subb_co_u32_e64 v6, s[2:3], v6, v7, vcc
	v_subrev_co_u32_e64 v7, s[2:3], s30, v4
	v_subbrev_co_u32_e64 v6, s[2:3], 0, v6, s[2:3]
	v_cmp_le_u32_e64 s[2:3], s31, v6
	v_subb_co_u32_e32 v5, vcc, v9, v5, vcc
	v_cndmask_b32_e64 v10, 0, -1, s[2:3]
	v_cmp_le_u32_e64 s[2:3], s30, v7
	v_cmp_le_u32_e32 vcc, s31, v5
	v_cndmask_b32_e64 v7, 0, -1, s[2:3]
	v_cmp_eq_u32_e64 s[2:3], s31, v6
	v_cndmask_b32_e64 v9, 0, -1, vcc
	v_cmp_le_u32_e32 vcc, s30, v4
	v_cndmask_b32_e64 v6, v10, v7, s[2:3]
	v_cndmask_b32_e64 v4, 0, -1, vcc
	v_cmp_eq_u32_e32 vcc, s31, v5
	v_add_co_u32_e64 v7, s[2:3], 2, v3
	v_add_co_u32_e64 v10, s[2:3], 1, v3
	v_cndmask_b32_e32 v4, v9, v4, vcc
	v_cmp_ne_u32_e32 vcc, 0, v6
	v_cndmask_b32_e32 v5, v10, v7, vcc
	v_cmp_ne_u32_e32 vcc, 0, v4
	v_cndmask_b32_e32 v3, v3, v5, vcc
	v_xor_b32_e32 v4, s28, v8
	v_xor_b32_e32 v3, v3, v4
	v_sub_co_u32_e32 v6, vcc, v3, v4
                                        ; implicit-def: $vgpr4_vgpr5
.LBB63_13:                              ;   in Loop: Header=BB63_3 Depth=1
	s_andn2_saveexec_b64 s[2:3], s[26:27]
	s_cbranch_execz .LBB63_15
; %bb.14:                               ;   in Loop: Header=BB63_3 Depth=1
	v_cvt_f32_u32_e32 v3, s33
	s_sub_i32 s26, 0, s33
	v_rcp_iflag_f32_e32 v3, v3
	v_mul_f32_e32 v3, 0x4f7ffffe, v3
	v_cvt_u32_f32_e32 v3, v3
	v_mul_lo_u32 v5, s26, v3
	v_mul_hi_u32 v5, v3, v5
	v_add_u32_e32 v3, v3, v5
	v_mul_hi_u32 v3, v4, v3
	v_mul_lo_u32 v5, v3, s33
	v_sub_u32_e32 v4, v4, v5
	v_add_u32_e32 v6, 1, v3
	v_subrev_u32_e32 v5, s33, v4
	v_cmp_le_u32_e32 vcc, s33, v4
	v_cndmask_b32_e32 v4, v4, v5, vcc
	v_cndmask_b32_e32 v3, v3, v6, vcc
	v_add_u32_e32 v5, 1, v3
	v_cmp_le_u32_e32 vcc, s33, v4
	v_cndmask_b32_e32 v6, v3, v5, vcc
.LBB63_15:                              ;   in Loop: Header=BB63_3 Depth=1
	s_or_b64 exec, exec, s[2:3]
	v_ashrrev_i32_e32 v7, 31, v6
	v_cmp_eq_u64_e32 vcc, s[8:9], v[6:7]
	v_cndmask_b32_e64 v3, 0, 1, vcc
	v_sub_co_u32_e32 v3, vcc, v6, v3
	v_subbrev_co_u32_e32 v4, vcc, 0, v7, vcc
	v_mul_lo_u32 v9, v4, s16
	v_pk_mov_b32 v[4:5], s[6:7], s[6:7] op_sel:[0,1]
	v_mul_lo_u32 v8, v3, s17
	v_mad_u64_u32 v[6:7], s[2:3], v3, s16, v[4:5]
	v_add3_u32 v5, v9, v7, v8
	v_and_b32_e32 v4, -4, v6
	global_load_dword v7, v[4:5], off
	v_and_b32_e32 v3, 3, v6
	v_lshlrev_b32_e32 v3, 3, v3
	v_lshlrev_b32_e64 v6, v3, s40
	v_not_b32_e32 v8, v6
	s_mov_b64 s[2:3], 0
.LBB63_16:                              ;   Parent Loop BB63_3 Depth=1
                                        ; =>  This Inner Loop Header: Depth=2
	s_waitcnt vmcnt(0)
	v_lshrrev_b32_e32 v6, v3, v7
	v_add_u32_e32 v6, 1, v6
	v_and_b32_e32 v9, v7, v8
	v_and_b32_e32 v6, 0xff, v6
	v_lshl_or_b32 v6, v6, v3, v9
	global_atomic_cmpswap v6, v[4:5], v[6:7], off glc
	s_waitcnt vmcnt(0)
	v_cmp_eq_u32_e32 vcc, v7, v6
	s_or_b64 s[2:3], vcc, s[2:3]
	v_mov_b32_e32 v7, v6
	s_andn2_b64 exec, exec, s[2:3]
	s_cbranch_execnz .LBB63_16
	s_branch .LBB63_2
.LBB63_17:
	s_endpgm
	.section	.rodata,"a",@progbits
	.p2align	6, 0x0
	.amdhsa_kernel _ZN2at4cuda17kernelHistogram1DIhhlLi1ELi2ELin1ELNS0_23CUDAHistogramMemoryTypeE1EZNS0_21CUDA_tensor_histogramIhhLb0EEEbNS_6TensorES4_S4_lNS_14AccumulateTypeIT0_Lb1EE4typeES8_NS0_13TensorArgTypeES9_S9_EUllE0_EEvNS0_6detail10TensorInfoIT_T1_EESF_NSC_IKS6_SE_EElS8_S8_SE_T6_
		.amdhsa_group_segment_fixed_size 0
		.amdhsa_private_segment_fixed_size 0
		.amdhsa_kernarg_size 1544
		.amdhsa_user_sgpr_count 6
		.amdhsa_user_sgpr_private_segment_buffer 1
		.amdhsa_user_sgpr_dispatch_ptr 0
		.amdhsa_user_sgpr_queue_ptr 0
		.amdhsa_user_sgpr_kernarg_segment_ptr 1
		.amdhsa_user_sgpr_dispatch_id 0
		.amdhsa_user_sgpr_flat_scratch_init 0
		.amdhsa_user_sgpr_kernarg_preload_length 0
		.amdhsa_user_sgpr_kernarg_preload_offset 0
		.amdhsa_user_sgpr_private_segment_size 0
		.amdhsa_uses_dynamic_stack 0
		.amdhsa_system_sgpr_private_segment_wavefront_offset 0
		.amdhsa_system_sgpr_workgroup_id_x 1
		.amdhsa_system_sgpr_workgroup_id_y 0
		.amdhsa_system_sgpr_workgroup_id_z 0
		.amdhsa_system_sgpr_workgroup_info 0
		.amdhsa_system_vgpr_workitem_id 0
		.amdhsa_next_free_vgpr 18
		.amdhsa_next_free_sgpr 42
		.amdhsa_accum_offset 20
		.amdhsa_reserve_vcc 1
		.amdhsa_reserve_flat_scratch 0
		.amdhsa_float_round_mode_32 0
		.amdhsa_float_round_mode_16_64 0
		.amdhsa_float_denorm_mode_32 3
		.amdhsa_float_denorm_mode_16_64 3
		.amdhsa_dx10_clamp 1
		.amdhsa_ieee_mode 1
		.amdhsa_fp16_overflow 0
		.amdhsa_tg_split 0
		.amdhsa_exception_fp_ieee_invalid_op 0
		.amdhsa_exception_fp_denorm_src 0
		.amdhsa_exception_fp_ieee_div_zero 0
		.amdhsa_exception_fp_ieee_overflow 0
		.amdhsa_exception_fp_ieee_underflow 0
		.amdhsa_exception_fp_ieee_inexact 0
		.amdhsa_exception_int_div_zero 0
	.end_amdhsa_kernel
	.section	.text._ZN2at4cuda17kernelHistogram1DIhhlLi1ELi2ELin1ELNS0_23CUDAHistogramMemoryTypeE1EZNS0_21CUDA_tensor_histogramIhhLb0EEEbNS_6TensorES4_S4_lNS_14AccumulateTypeIT0_Lb1EE4typeES8_NS0_13TensorArgTypeES9_S9_EUllE0_EEvNS0_6detail10TensorInfoIT_T1_EESF_NSC_IKS6_SE_EElS8_S8_SE_T6_,"axG",@progbits,_ZN2at4cuda17kernelHistogram1DIhhlLi1ELi2ELin1ELNS0_23CUDAHistogramMemoryTypeE1EZNS0_21CUDA_tensor_histogramIhhLb0EEEbNS_6TensorES4_S4_lNS_14AccumulateTypeIT0_Lb1EE4typeES8_NS0_13TensorArgTypeES9_S9_EUllE0_EEvNS0_6detail10TensorInfoIT_T1_EESF_NSC_IKS6_SE_EElS8_S8_SE_T6_,comdat
.Lfunc_end63:
	.size	_ZN2at4cuda17kernelHistogram1DIhhlLi1ELi2ELin1ELNS0_23CUDAHistogramMemoryTypeE1EZNS0_21CUDA_tensor_histogramIhhLb0EEEbNS_6TensorES4_S4_lNS_14AccumulateTypeIT0_Lb1EE4typeES8_NS0_13TensorArgTypeES9_S9_EUllE0_EEvNS0_6detail10TensorInfoIT_T1_EESF_NSC_IKS6_SE_EElS8_S8_SE_T6_, .Lfunc_end63-_ZN2at4cuda17kernelHistogram1DIhhlLi1ELi2ELin1ELNS0_23CUDAHistogramMemoryTypeE1EZNS0_21CUDA_tensor_histogramIhhLb0EEEbNS_6TensorES4_S4_lNS_14AccumulateTypeIT0_Lb1EE4typeES8_NS0_13TensorArgTypeES9_S9_EUllE0_EEvNS0_6detail10TensorInfoIT_T1_EESF_NSC_IKS6_SE_EElS8_S8_SE_T6_
                                        ; -- End function
	.section	.AMDGPU.csdata,"",@progbits
; Kernel info:
; codeLenInByte = 2284
; NumSgprs: 46
; NumVgprs: 18
; NumAgprs: 0
; TotalNumVgprs: 18
; ScratchSize: 0
; MemoryBound: 0
; FloatMode: 240
; IeeeMode: 1
; LDSByteSize: 0 bytes/workgroup (compile time only)
; SGPRBlocks: 5
; VGPRBlocks: 2
; NumSGPRsForWavesPerEU: 46
; NumVGPRsForWavesPerEU: 18
; AccumOffset: 20
; Occupancy: 8
; WaveLimiterHint : 1
; COMPUTE_PGM_RSRC2:SCRATCH_EN: 0
; COMPUTE_PGM_RSRC2:USER_SGPR: 6
; COMPUTE_PGM_RSRC2:TRAP_HANDLER: 0
; COMPUTE_PGM_RSRC2:TGID_X_EN: 1
; COMPUTE_PGM_RSRC2:TGID_Y_EN: 0
; COMPUTE_PGM_RSRC2:TGID_Z_EN: 0
; COMPUTE_PGM_RSRC2:TIDIG_COMP_CNT: 0
; COMPUTE_PGM_RSRC3_GFX90A:ACCUM_OFFSET: 4
; COMPUTE_PGM_RSRC3_GFX90A:TG_SPLIT: 0
	.section	.text._ZN2at4cuda17kernelHistogram1DIaalLi1ELi2ELin1ELNS0_23CUDAHistogramMemoryTypeE0EZNS0_21CUDA_tensor_histogramIaaLb0EEEbNS_6TensorES4_S4_lNS_14AccumulateTypeIT0_Lb1EE4typeES8_NS0_13TensorArgTypeES9_S9_EUllE_EEvNS0_6detail10TensorInfoIT_T1_EESF_NSC_IKS6_SE_EElS8_S8_SE_T6_,"axG",@progbits,_ZN2at4cuda17kernelHistogram1DIaalLi1ELi2ELin1ELNS0_23CUDAHistogramMemoryTypeE0EZNS0_21CUDA_tensor_histogramIaaLb0EEEbNS_6TensorES4_S4_lNS_14AccumulateTypeIT0_Lb1EE4typeES8_NS0_13TensorArgTypeES9_S9_EUllE_EEvNS0_6detail10TensorInfoIT_T1_EESF_NSC_IKS6_SE_EElS8_S8_SE_T6_,comdat
	.protected	_ZN2at4cuda17kernelHistogram1DIaalLi1ELi2ELin1ELNS0_23CUDAHistogramMemoryTypeE0EZNS0_21CUDA_tensor_histogramIaaLb0EEEbNS_6TensorES4_S4_lNS_14AccumulateTypeIT0_Lb1EE4typeES8_NS0_13TensorArgTypeES9_S9_EUllE_EEvNS0_6detail10TensorInfoIT_T1_EESF_NSC_IKS6_SE_EElS8_S8_SE_T6_ ; -- Begin function _ZN2at4cuda17kernelHistogram1DIaalLi1ELi2ELin1ELNS0_23CUDAHistogramMemoryTypeE0EZNS0_21CUDA_tensor_histogramIaaLb0EEEbNS_6TensorES4_S4_lNS_14AccumulateTypeIT0_Lb1EE4typeES8_NS0_13TensorArgTypeES9_S9_EUllE_EEvNS0_6detail10TensorInfoIT_T1_EESF_NSC_IKS6_SE_EElS8_S8_SE_T6_
	.globl	_ZN2at4cuda17kernelHistogram1DIaalLi1ELi2ELin1ELNS0_23CUDAHistogramMemoryTypeE0EZNS0_21CUDA_tensor_histogramIaaLb0EEEbNS_6TensorES4_S4_lNS_14AccumulateTypeIT0_Lb1EE4typeES8_NS0_13TensorArgTypeES9_S9_EUllE_EEvNS0_6detail10TensorInfoIT_T1_EESF_NSC_IKS6_SE_EElS8_S8_SE_T6_
	.p2align	8
	.type	_ZN2at4cuda17kernelHistogram1DIaalLi1ELi2ELin1ELNS0_23CUDAHistogramMemoryTypeE0EZNS0_21CUDA_tensor_histogramIaaLb0EEEbNS_6TensorES4_S4_lNS_14AccumulateTypeIT0_Lb1EE4typeES8_NS0_13TensorArgTypeES9_S9_EUllE_EEvNS0_6detail10TensorInfoIT_T1_EESF_NSC_IKS6_SE_EElS8_S8_SE_T6_,@function
_ZN2at4cuda17kernelHistogram1DIaalLi1ELi2ELin1ELNS0_23CUDAHistogramMemoryTypeE0EZNS0_21CUDA_tensor_histogramIaaLb0EEEbNS_6TensorES4_S4_lNS_14AccumulateTypeIT0_Lb1EE4typeES8_NS0_13TensorArgTypeES9_S9_EUllE_EEvNS0_6detail10TensorInfoIT_T1_EESF_NSC_IKS6_SE_EElS8_S8_SE_T6_: ; @_ZN2at4cuda17kernelHistogram1DIaalLi1ELi2ELin1ELNS0_23CUDAHistogramMemoryTypeE0EZNS0_21CUDA_tensor_histogramIaaLb0EEEbNS_6TensorES4_S4_lNS_14AccumulateTypeIT0_Lb1EE4typeES8_NS0_13TensorArgTypeES9_S9_EUllE_EEvNS0_6detail10TensorInfoIT_T1_EESF_NSC_IKS6_SE_EElS8_S8_SE_T6_
; %bb.0:
	s_load_dwordx4 s[16:19], s[4:5], 0x0
	s_load_dwordx2 s[22:23], s[4:5], 0x500
	s_load_dwordx8 s[8:15], s[4:5], 0x4e0
	v_mov_b32_e32 v1, 0
	s_add_u32 s2, s4, 0x6a0
	s_waitcnt lgkmcnt(0)
	v_cmp_gt_i64_e64 s[0:1], s[18:19], v[0:1]
	v_cmp_le_i64_e32 vcc, s[18:19], v[0:1]
	s_addc_u32 s3, s5, 0
                                        ; implicit-def: $sgpr28
                                        ; implicit-def: $sgpr7
	s_and_saveexec_b64 s[20:21], vcc
	s_xor_b64 s[20:21], exec, s[20:21]
	s_cbranch_execz .LBB64_2
; %bb.1:
	s_load_dword s28, s[2:3], 0xc
	s_waitcnt lgkmcnt(0)
	s_and_b32 s7, s28, 0xffff
.LBB64_2:
	s_or_saveexec_b64 s[26:27], s[20:21]
	s_load_dwordx2 s[20:21], s[4:5], 0xd0
	s_load_dwordx2 s[24:25], s[4:5], 0x5d0
	v_mov_b32_e32 v7, s28
	v_mov_b32_e32 v5, s7
	s_xor_b64 exec, exec, s[26:27]
	s_cbranch_execz .LBB64_6
; %bb.3:
	s_load_dword s7, s[2:3], 0xc
	s_mov_b32 s31, 0
	v_add_u32_e32 v4, 0, v0
	s_mov_b64 s[28:29], 0
	v_mov_b32_e32 v5, 0
	s_waitcnt lgkmcnt(0)
	s_and_b32 s30, s7, 0xffff
	v_mov_b32_e32 v6, s31
	v_pk_mov_b32 v[2:3], v[0:1], v[0:1] op_sel:[0,1]
.LBB64_4:                               ; =>This Inner Loop Header: Depth=1
	v_add_co_u32_e32 v2, vcc, s30, v2
	v_addc_co_u32_e32 v3, vcc, v3, v6, vcc
	v_cmp_le_i64_e32 vcc, s[18:19], v[2:3]
	ds_write_b8 v4, v5
	s_or_b64 s[28:29], vcc, s[28:29]
	v_add_u32_e32 v4, s30, v4
	s_andn2_b64 exec, exec, s[28:29]
	s_cbranch_execnz .LBB64_4
; %bb.5:
	s_or_b64 exec, exec, s[28:29]
	v_mov_b32_e32 v7, s7
	v_mov_b32_e32 v5, s30
.LBB64_6:
	s_or_b64 exec, exec, s[26:27]
	v_mad_u64_u32 v[2:3], s[6:7], s6, v5, v[0:1]
	v_mov_b32_e32 v4, 0
	v_mov_b32_e32 v3, v4
	v_cmp_gt_i64_e32 vcc, s[14:15], v[2:3]
	s_waitcnt lgkmcnt(0)
	s_barrier
	s_and_saveexec_b64 s[6:7], vcc
	s_cbranch_execz .LBB64_23
; %bb.7:
	s_load_dword s30, s[4:5], 0x4d8
	s_load_dwordx2 s[26:27], s[4:5], 0x410
	s_load_dwordx2 s[28:29], s[4:5], 0x340
	s_add_u32 s31, s4, 0x340
	s_addc_u32 s35, s5, 0
	s_waitcnt lgkmcnt(0)
	s_cmp_gt_i32 s30, 1
	s_load_dword s34, s[2:3], 0x0
	s_cselect_b64 s[2:3], -1, 0
	s_sub_u32 s33, s12, s10
	s_subb_u32 s46, s13, s11
	s_mov_b32 s5, 0
	s_add_i32 s4, s30, -1
	s_add_i32 s47, s30, 1
	s_lshl_b64 s[4:5], s[4:5], 3
	s_add_u32 s4, s4, s31
	s_addc_u32 s5, s5, s35
	s_waitcnt lgkmcnt(0)
	v_mul_lo_u32 v6, s34, v5
	s_add_u32 s30, s4, 8
	v_cndmask_b32_e64 v5, 0, 1, s[2:3]
	s_addc_u32 s31, s5, 0
	s_mov_b64 s[34:35], 0
	v_cmp_ne_u32_e64 s[2:3], 1, v5
	s_movk_i32 s48, 0xff
	s_branch .LBB64_9
.LBB64_8:                               ;   in Loop: Header=BB64_9 Depth=1
	s_or_b64 exec, exec, s[36:37]
	v_add_co_u32_e32 v2, vcc, v2, v6
	v_addc_co_u32_e32 v3, vcc, 0, v3, vcc
	v_cmp_le_i64_e32 vcc, s[14:15], v[2:3]
	s_or_b64 s[34:35], vcc, s[34:35]
	s_andn2_b64 exec, exec, s[34:35]
	s_cbranch_execz .LBB64_23
.LBB64_9:                               ; =>This Loop Header: Depth=1
                                        ;     Child Loop BB64_10 Depth 2
                                        ;     Child Loop BB64_22 Depth 2
	s_and_b64 vcc, exec, s[2:3]
	v_pk_mov_b32 v[8:9], 0, 0
	s_mov_b64 s[36:37], s[30:31]
	s_mov_b32 s49, s47
	v_pk_mov_b32 v[10:11], v[2:3], v[2:3] op_sel:[0,1]
	v_pk_mov_b32 v[12:13], v[2:3], v[2:3] op_sel:[0,1]
	s_cbranch_vccnz .LBB64_16
.LBB64_10:                              ;   Parent Loop BB64_9 Depth=1
                                        ; =>  This Inner Loop Header: Depth=2
	s_load_dwordx2 s[38:39], s[36:37], 0x0
                                        ; implicit-def: $vgpr12_vgpr13
	s_waitcnt lgkmcnt(0)
	v_or_b32_e32 v5, s39, v11
	v_cmp_ne_u64_e32 vcc, 0, v[4:5]
	s_and_saveexec_b64 s[4:5], vcc
	s_xor_b64 s[40:41], exec, s[4:5]
	s_cbranch_execz .LBB64_12
; %bb.11:                               ;   in Loop: Header=BB64_10 Depth=2
	s_ashr_i32 s42, s39, 31
	s_add_u32 s4, s38, s42
	s_mov_b32 s43, s42
	s_addc_u32 s5, s39, s42
	s_xor_b64 s[44:45], s[4:5], s[42:43]
	v_cvt_f32_u32_e32 v5, s44
	v_cvt_f32_u32_e32 v12, s45
	s_sub_u32 s4, 0, s44
	s_subb_u32 s5, 0, s45
	v_mac_f32_e32 v5, 0x4f800000, v12
	v_rcp_f32_e32 v5, v5
	v_mul_f32_e32 v5, 0x5f7ffffc, v5
	v_mul_f32_e32 v12, 0x2f800000, v5
	v_trunc_f32_e32 v12, v12
	v_mac_f32_e32 v5, 0xcf800000, v12
	v_cvt_u32_f32_e32 v12, v12
	v_cvt_u32_f32_e32 v5, v5
	v_mul_lo_u32 v13, s4, v12
	v_mul_hi_u32 v15, s4, v5
	v_mul_lo_u32 v14, s5, v5
	v_add_u32_e32 v13, v15, v13
	v_mul_lo_u32 v16, s4, v5
	v_add_u32_e32 v13, v13, v14
	v_mul_lo_u32 v15, v5, v13
	v_mul_hi_u32 v17, v5, v16
	v_mul_hi_u32 v14, v5, v13
	v_add_co_u32_e32 v15, vcc, v17, v15
	v_addc_co_u32_e32 v14, vcc, 0, v14, vcc
	v_mul_hi_u32 v18, v12, v16
	v_mul_lo_u32 v16, v12, v16
	v_add_co_u32_e32 v15, vcc, v15, v16
	v_mul_hi_u32 v17, v12, v13
	v_addc_co_u32_e32 v14, vcc, v14, v18, vcc
	v_addc_co_u32_e32 v15, vcc, 0, v17, vcc
	v_mul_lo_u32 v13, v12, v13
	v_add_co_u32_e32 v13, vcc, v14, v13
	v_addc_co_u32_e32 v14, vcc, 0, v15, vcc
	v_add_co_u32_e32 v5, vcc, v5, v13
	v_addc_co_u32_e32 v12, vcc, v12, v14, vcc
	v_mul_lo_u32 v13, s4, v12
	v_mul_hi_u32 v14, s4, v5
	v_add_u32_e32 v13, v14, v13
	v_mul_lo_u32 v14, s5, v5
	v_add_u32_e32 v13, v13, v14
	v_mul_lo_u32 v15, s4, v5
	v_mul_hi_u32 v16, v12, v15
	v_mul_lo_u32 v17, v12, v15
	v_mul_lo_u32 v19, v5, v13
	v_mul_hi_u32 v15, v5, v15
	v_mul_hi_u32 v18, v5, v13
	v_add_co_u32_e32 v15, vcc, v15, v19
	v_addc_co_u32_e32 v18, vcc, 0, v18, vcc
	v_add_co_u32_e32 v15, vcc, v15, v17
	v_mul_hi_u32 v14, v12, v13
	v_addc_co_u32_e32 v15, vcc, v18, v16, vcc
	v_addc_co_u32_e32 v14, vcc, 0, v14, vcc
	v_mul_lo_u32 v13, v12, v13
	v_add_co_u32_e32 v13, vcc, v15, v13
	v_addc_co_u32_e32 v14, vcc, 0, v14, vcc
	v_add_co_u32_e32 v5, vcc, v5, v13
	v_addc_co_u32_e32 v14, vcc, v12, v14, vcc
	v_ashrrev_i32_e32 v16, 31, v11
	v_add_co_u32_e32 v12, vcc, v10, v16
	v_addc_co_u32_e32 v13, vcc, v11, v16, vcc
	v_xor_b32_e32 v18, v12, v16
	v_xor_b32_e32 v17, v13, v16
	v_mad_u64_u32 v[12:13], s[4:5], v18, v14, 0
	v_mul_hi_u32 v15, v18, v5
	v_add_co_u32_e32 v19, vcc, v15, v12
	v_addc_co_u32_e32 v20, vcc, 0, v13, vcc
	v_mad_u64_u32 v[12:13], s[4:5], v17, v14, 0
	v_mad_u64_u32 v[14:15], s[4:5], v17, v5, 0
	v_add_co_u32_e32 v5, vcc, v19, v14
	v_addc_co_u32_e32 v5, vcc, v20, v15, vcc
	v_addc_co_u32_e32 v13, vcc, 0, v13, vcc
	v_add_co_u32_e32 v5, vcc, v5, v12
	v_addc_co_u32_e32 v14, vcc, 0, v13, vcc
	v_mul_lo_u32 v15, s45, v5
	v_mul_lo_u32 v19, s44, v14
	v_mad_u64_u32 v[12:13], s[4:5], s44, v5, 0
	v_add3_u32 v13, v13, v19, v15
	v_sub_u32_e32 v15, v17, v13
	v_mov_b32_e32 v19, s45
	v_sub_co_u32_e32 v12, vcc, v18, v12
	v_subb_co_u32_e64 v15, s[4:5], v15, v19, vcc
	v_subrev_co_u32_e64 v18, s[4:5], s44, v12
	v_subbrev_co_u32_e64 v15, s[4:5], 0, v15, s[4:5]
	v_cmp_le_u32_e64 s[4:5], s45, v15
	v_cndmask_b32_e64 v19, 0, -1, s[4:5]
	v_cmp_le_u32_e64 s[4:5], s44, v18
	v_cndmask_b32_e64 v18, 0, -1, s[4:5]
	v_cmp_eq_u32_e64 s[4:5], s45, v15
	v_cndmask_b32_e64 v15, v19, v18, s[4:5]
	v_add_co_u32_e64 v18, s[4:5], 2, v5
	v_subb_co_u32_e32 v13, vcc, v17, v13, vcc
	v_addc_co_u32_e64 v19, s[4:5], 0, v14, s[4:5]
	v_cmp_le_u32_e32 vcc, s45, v13
	v_add_co_u32_e64 v20, s[4:5], 1, v5
	v_cndmask_b32_e64 v17, 0, -1, vcc
	v_cmp_le_u32_e32 vcc, s44, v12
	v_addc_co_u32_e64 v21, s[4:5], 0, v14, s[4:5]
	v_cndmask_b32_e64 v12, 0, -1, vcc
	v_cmp_eq_u32_e32 vcc, s45, v13
	v_cmp_ne_u32_e64 s[4:5], 0, v15
	v_cndmask_b32_e32 v12, v17, v12, vcc
	v_cmp_ne_u32_e32 vcc, 0, v12
	v_cndmask_b32_e64 v13, v20, v18, s[4:5]
	v_cndmask_b32_e64 v15, v21, v19, s[4:5]
	v_cndmask_b32_e32 v5, v5, v13, vcc
	v_xor_b32_e32 v13, s42, v16
	v_cndmask_b32_e32 v12, v14, v15, vcc
	v_xor_b32_e32 v5, v5, v13
	v_xor_b32_e32 v14, v12, v13
	v_sub_co_u32_e32 v12, vcc, v5, v13
	v_subb_co_u32_e32 v13, vcc, v14, v13, vcc
.LBB64_12:                              ;   in Loop: Header=BB64_10 Depth=2
	s_andn2_saveexec_b64 s[4:5], s[40:41]
	s_cbranch_execz .LBB64_14
; %bb.13:                               ;   in Loop: Header=BB64_10 Depth=2
	v_cvt_f32_u32_e32 v5, s38
	s_sub_i32 s40, 0, s38
	v_rcp_iflag_f32_e32 v5, v5
	v_mul_f32_e32 v5, 0x4f7ffffe, v5
	v_cvt_u32_f32_e32 v5, v5
	v_mul_lo_u32 v12, s40, v5
	v_mul_hi_u32 v12, v5, v12
	v_add_u32_e32 v5, v5, v12
	v_mul_hi_u32 v5, v10, v5
	v_mul_lo_u32 v12, v5, s38
	v_sub_u32_e32 v12, v10, v12
	v_add_u32_e32 v13, 1, v5
	v_subrev_u32_e32 v14, s38, v12
	v_cmp_le_u32_e32 vcc, s38, v12
	v_cndmask_b32_e32 v12, v12, v14, vcc
	v_cndmask_b32_e32 v5, v5, v13, vcc
	v_add_u32_e32 v13, 1, v5
	v_cmp_le_u32_e32 vcc, s38, v12
	v_cndmask_b32_e32 v12, v5, v13, vcc
	v_mov_b32_e32 v13, v4
.LBB64_14:                              ;   in Loop: Header=BB64_10 Depth=2
	s_or_b64 exec, exec, s[4:5]
	v_mad_u64_u32 v[14:15], s[4:5], v12, s38, 0
	s_load_dwordx2 s[4:5], s[36:37], 0xc8
	v_mul_lo_u32 v5, v13, s38
	v_mul_lo_u32 v16, v12, s39
	v_add3_u32 v5, v15, v16, v5
	v_sub_co_u32_e32 v10, vcc, v10, v14
	s_add_i32 s49, s49, -1
	v_subb_co_u32_e32 v5, vcc, v11, v5, vcc
	s_add_u32 s36, s36, -8
	s_waitcnt lgkmcnt(0)
	v_mul_lo_u32 v5, s4, v5
	v_mul_lo_u32 v11, s5, v10
	v_mad_u64_u32 v[8:9], s[4:5], s4, v10, v[8:9]
	s_addc_u32 s37, s37, -1
	s_cmp_gt_u32 s49, 2
	v_add3_u32 v9, v11, v9, v5
	s_cbranch_scc0 .LBB64_16
; %bb.15:                               ;   in Loop: Header=BB64_10 Depth=2
	v_pk_mov_b32 v[10:11], v[12:13], v[12:13] op_sel:[0,1]
	s_branch .LBB64_10
.LBB64_16:                              ;   in Loop: Header=BB64_9 Depth=1
	v_pk_mov_b32 v[10:11], s[28:29], s[28:29] op_sel:[0,1]
	v_mad_u64_u32 v[10:11], s[4:5], s26, v12, v[10:11]
	v_mul_lo_u32 v5, s26, v13
	v_mul_lo_u32 v12, s27, v12
	v_add3_u32 v5, v12, v11, v5
	v_add_co_u32_e32 v8, vcc, v10, v8
	v_addc_co_u32_e32 v9, vcc, v5, v9, vcc
	global_load_sbyte v5, v[8:9], off
	s_waitcnt vmcnt(0)
	v_bfe_i32 v8, v5, 0, 16
	v_ashrrev_i32_e32 v9, 31, v8
	v_cmp_le_i64_e32 vcc, s[10:11], v[8:9]
	v_cmp_ge_i64_e64 s[4:5], s[12:13], v[8:9]
	s_and_b64 s[4:5], vcc, s[4:5]
	s_and_saveexec_b64 s[36:37], s[4:5]
	s_cbranch_execz .LBB64_8
; %bb.17:                               ;   in Loop: Header=BB64_9 Depth=1
	v_mov_b32_e32 v5, s11
	v_subrev_co_u32_e32 v8, vcc, s10, v8
	v_subb_co_u32_e32 v5, vcc, v9, v5, vcc
	v_mul_lo_u32 v5, v5, s8
	v_mul_lo_u32 v10, v8, s9
	v_mad_u64_u32 v[8:9], s[4:5], v8, s8, 0
	v_add3_u32 v9, v9, v10, v5
	v_or_b32_e32 v5, s46, v9
	v_cmp_ne_u64_e32 vcc, 0, v[4:5]
                                        ; implicit-def: $vgpr10_vgpr11
	s_and_saveexec_b64 s[4:5], vcc
	s_xor_b64 s[38:39], exec, s[4:5]
	s_cbranch_execz .LBB64_19
; %bb.18:                               ;   in Loop: Header=BB64_9 Depth=1
	s_ashr_i32 s40, s46, 31
	s_add_u32 s4, s33, s40
	s_mov_b32 s41, s40
	s_addc_u32 s5, s46, s40
	s_xor_b64 s[42:43], s[4:5], s[40:41]
	v_cvt_f32_u32_e32 v5, s42
	v_cvt_f32_u32_e32 v10, s43
	s_sub_u32 s4, 0, s42
	s_subb_u32 s5, 0, s43
	v_mac_f32_e32 v5, 0x4f800000, v10
	v_rcp_f32_e32 v5, v5
	v_mul_f32_e32 v5, 0x5f7ffffc, v5
	v_mul_f32_e32 v10, 0x2f800000, v5
	v_trunc_f32_e32 v10, v10
	v_mac_f32_e32 v5, 0xcf800000, v10
	v_cvt_u32_f32_e32 v10, v10
	v_cvt_u32_f32_e32 v5, v5
	v_mul_lo_u32 v11, s4, v10
	v_mul_hi_u32 v13, s4, v5
	v_mul_lo_u32 v12, s5, v5
	v_add_u32_e32 v11, v13, v11
	v_mul_lo_u32 v14, s4, v5
	v_add_u32_e32 v11, v11, v12
	v_mul_lo_u32 v13, v5, v11
	v_mul_hi_u32 v15, v5, v14
	v_mul_hi_u32 v12, v5, v11
	v_add_co_u32_e32 v13, vcc, v15, v13
	v_addc_co_u32_e32 v12, vcc, 0, v12, vcc
	v_mul_hi_u32 v16, v10, v14
	v_mul_lo_u32 v14, v10, v14
	v_add_co_u32_e32 v13, vcc, v13, v14
	v_mul_hi_u32 v15, v10, v11
	v_addc_co_u32_e32 v12, vcc, v12, v16, vcc
	v_addc_co_u32_e32 v13, vcc, 0, v15, vcc
	v_mul_lo_u32 v11, v10, v11
	v_add_co_u32_e32 v11, vcc, v12, v11
	v_addc_co_u32_e32 v12, vcc, 0, v13, vcc
	v_add_co_u32_e32 v5, vcc, v5, v11
	v_addc_co_u32_e32 v10, vcc, v10, v12, vcc
	v_mul_lo_u32 v11, s4, v10
	v_mul_hi_u32 v12, s4, v5
	v_add_u32_e32 v11, v12, v11
	v_mul_lo_u32 v12, s5, v5
	v_add_u32_e32 v11, v11, v12
	v_mul_lo_u32 v13, s4, v5
	v_mul_hi_u32 v14, v10, v13
	v_mul_lo_u32 v15, v10, v13
	v_mul_lo_u32 v17, v5, v11
	v_mul_hi_u32 v13, v5, v13
	v_mul_hi_u32 v16, v5, v11
	v_add_co_u32_e32 v13, vcc, v13, v17
	v_addc_co_u32_e32 v16, vcc, 0, v16, vcc
	v_add_co_u32_e32 v13, vcc, v13, v15
	v_mul_hi_u32 v12, v10, v11
	v_addc_co_u32_e32 v13, vcc, v16, v14, vcc
	v_addc_co_u32_e32 v12, vcc, 0, v12, vcc
	v_mul_lo_u32 v11, v10, v11
	v_add_co_u32_e32 v11, vcc, v13, v11
	v_addc_co_u32_e32 v12, vcc, 0, v12, vcc
	v_add_co_u32_e32 v5, vcc, v5, v11
	v_addc_co_u32_e32 v10, vcc, v10, v12, vcc
	v_ashrrev_i32_e32 v12, 31, v9
	v_add_co_u32_e32 v8, vcc, v8, v12
	v_addc_co_u32_e32 v9, vcc, v9, v12, vcc
	v_xor_b32_e32 v14, v8, v12
	v_xor_b32_e32 v13, v9, v12
	v_mad_u64_u32 v[8:9], s[4:5], v14, v10, 0
	v_mul_hi_u32 v11, v14, v5
	v_add_co_u32_e32 v15, vcc, v11, v8
	v_addc_co_u32_e32 v16, vcc, 0, v9, vcc
	v_mad_u64_u32 v[8:9], s[4:5], v13, v10, 0
	v_mad_u64_u32 v[10:11], s[4:5], v13, v5, 0
	v_add_co_u32_e32 v5, vcc, v15, v10
	v_addc_co_u32_e32 v5, vcc, v16, v11, vcc
	v_addc_co_u32_e32 v9, vcc, 0, v9, vcc
	v_add_co_u32_e32 v5, vcc, v5, v8
	v_addc_co_u32_e32 v8, vcc, 0, v9, vcc
	v_mul_lo_u32 v10, s43, v5
	v_mul_lo_u32 v11, s42, v8
	v_mad_u64_u32 v[8:9], s[4:5], s42, v5, 0
	v_add3_u32 v9, v9, v11, v10
	v_sub_u32_e32 v10, v13, v9
	v_mov_b32_e32 v11, s43
	v_sub_co_u32_e32 v8, vcc, v14, v8
	v_subb_co_u32_e64 v10, s[4:5], v10, v11, vcc
	v_subrev_co_u32_e64 v11, s[4:5], s42, v8
	v_subbrev_co_u32_e64 v10, s[4:5], 0, v10, s[4:5]
	v_cmp_le_u32_e64 s[4:5], s43, v10
	v_subb_co_u32_e32 v9, vcc, v13, v9, vcc
	v_cndmask_b32_e64 v14, 0, -1, s[4:5]
	v_cmp_le_u32_e64 s[4:5], s42, v11
	v_cmp_le_u32_e32 vcc, s43, v9
	v_cndmask_b32_e64 v11, 0, -1, s[4:5]
	v_cmp_eq_u32_e64 s[4:5], s43, v10
	v_cndmask_b32_e64 v13, 0, -1, vcc
	v_cmp_le_u32_e32 vcc, s42, v8
	v_cndmask_b32_e64 v10, v14, v11, s[4:5]
	v_cndmask_b32_e64 v8, 0, -1, vcc
	v_cmp_eq_u32_e32 vcc, s43, v9
	v_add_co_u32_e64 v11, s[4:5], 2, v5
	v_add_co_u32_e64 v14, s[4:5], 1, v5
	v_cndmask_b32_e32 v8, v13, v8, vcc
	v_cmp_ne_u32_e32 vcc, 0, v10
	v_cndmask_b32_e32 v9, v14, v11, vcc
	v_cmp_ne_u32_e32 vcc, 0, v8
	v_cndmask_b32_e32 v5, v5, v9, vcc
	v_xor_b32_e32 v8, s40, v12
	v_xor_b32_e32 v5, v5, v8
	v_sub_co_u32_e32 v10, vcc, v5, v8
                                        ; implicit-def: $vgpr8_vgpr9
.LBB64_19:                              ;   in Loop: Header=BB64_9 Depth=1
	s_andn2_saveexec_b64 s[4:5], s[38:39]
	s_cbranch_execz .LBB64_21
; %bb.20:                               ;   in Loop: Header=BB64_9 Depth=1
	v_cvt_f32_u32_e32 v5, s33
	s_sub_i32 s38, 0, s33
	v_rcp_iflag_f32_e32 v5, v5
	v_mul_f32_e32 v5, 0x4f7ffffe, v5
	v_cvt_u32_f32_e32 v5, v5
	v_mul_lo_u32 v9, s38, v5
	v_mul_hi_u32 v9, v5, v9
	v_add_u32_e32 v5, v5, v9
	v_mul_hi_u32 v5, v8, v5
	v_mul_lo_u32 v9, v5, s33
	v_sub_u32_e32 v8, v8, v9
	v_add_u32_e32 v10, 1, v5
	v_subrev_u32_e32 v9, s33, v8
	v_cmp_le_u32_e32 vcc, s33, v8
	v_cndmask_b32_e32 v8, v8, v9, vcc
	v_cndmask_b32_e32 v5, v5, v10, vcc
	v_add_u32_e32 v9, 1, v5
	v_cmp_le_u32_e32 vcc, s33, v8
	v_cndmask_b32_e32 v10, v5, v9, vcc
.LBB64_21:                              ;   in Loop: Header=BB64_9 Depth=1
	s_or_b64 exec, exec, s[4:5]
	v_pk_mov_b32 v[8:9], s[22:23], s[22:23] op_sel:[0,1]
	v_mad_u64_u32 v[8:9], s[4:5], v2, s24, v[8:9]
	v_mul_lo_u32 v5, v2, s25
	v_mul_lo_u32 v11, v3, s24
	v_add3_u32 v9, v11, v9, v5
	global_load_ubyte v5, v[8:9], off
	v_ashrrev_i32_e32 v11, 31, v10
	v_cmp_eq_u64_e32 vcc, s[8:9], v[10:11]
	v_subbrev_co_u32_e32 v8, vcc, 0, v10, vcc
	v_add_u32_e32 v11, 0, v8
	v_and_b32_e32 v9, -4, v11
	ds_read_b32 v10, v9
	v_and_b32_e32 v8, 3, v11
	v_sub_u32_e32 v12, 0, v8
	v_lshlrev_b32_e32 v8, 3, v8
	v_lshlrev_b32_e64 v9, v8, s48
	v_not_b32_e32 v9, v9
	s_mov_b64 s[4:5], 0
	v_add_u32_e32 v11, v11, v12
.LBB64_22:                              ;   Parent Loop BB64_9 Depth=1
                                        ; =>  This Inner Loop Header: Depth=2
	s_waitcnt lgkmcnt(0)
	v_lshrrev_b32_e32 v12, v8, v10
	s_waitcnt vmcnt(0)
	v_add_u16_e32 v12, v5, v12
	v_and_b32_e32 v13, v10, v9
	v_and_b32_e32 v12, 0xff, v12
	v_lshl_or_b32 v12, v12, v8, v13
	ds_cmpst_rtn_b32 v12, v11, v10, v12
	s_waitcnt lgkmcnt(0)
	v_cmp_eq_u32_e32 vcc, v10, v12
	s_or_b64 s[4:5], vcc, s[4:5]
	v_mov_b32_e32 v10, v12
	s_andn2_b64 exec, exec, s[4:5]
	s_cbranch_execnz .LBB64_22
	s_branch .LBB64_8
.LBB64_23:
	s_or_b64 exec, exec, s[6:7]
; %bb.24:
	s_barrier
	s_and_saveexec_b64 s[2:3], s[0:1]
	s_cbranch_execz .LBB64_29
; %bb.25:
	v_and_b32_e32 v2, 0xffff, v7
	s_mov_b64 s[0:1], 0
	v_pk_mov_b32 v[4:5], s[16:17], s[16:17] op_sel:[0,1]
	s_movk_i32 s4, 0xff
.LBB64_26:                              ; =>This Loop Header: Depth=1
                                        ;     Child Loop BB64_27 Depth 2
	v_mad_u64_u32 v[8:9], s[2:3], v0, s20, v[4:5]
	v_mul_lo_u32 v3, v0, s21
	v_mul_lo_u32 v6, v1, s20
	v_add3_u32 v7, v6, v9, v3
	v_and_b32_e32 v6, -4, v8
	global_load_dword v9, v[6:7], off
	v_add_u32_e32 v3, 0, v0
	ds_read_u8 v3, v3
	v_and_b32_e32 v8, 3, v8
	v_lshlrev_b32_e32 v10, 3, v8
	v_lshlrev_b32_e64 v8, v10, s4
	v_not_b32_e32 v11, v8
	s_mov_b64 s[2:3], 0
.LBB64_27:                              ;   Parent Loop BB64_26 Depth=1
                                        ; =>  This Inner Loop Header: Depth=2
	s_waitcnt vmcnt(0)
	v_lshrrev_b32_e32 v8, v10, v9
	s_waitcnt lgkmcnt(0)
	v_add_u16_e32 v8, v3, v8
	v_and_b32_e32 v12, v9, v11
	v_and_b32_e32 v8, 0xff, v8
	v_lshl_or_b32 v8, v8, v10, v12
	global_atomic_cmpswap v8, v[6:7], v[8:9], off glc
	s_waitcnt vmcnt(0)
	v_cmp_eq_u32_e32 vcc, v9, v8
	s_or_b64 s[2:3], vcc, s[2:3]
	v_mov_b32_e32 v9, v8
	s_andn2_b64 exec, exec, s[2:3]
	s_cbranch_execnz .LBB64_27
; %bb.28:                               ;   in Loop: Header=BB64_26 Depth=1
	s_or_b64 exec, exec, s[2:3]
	v_add_co_u32_e32 v0, vcc, v0, v2
	v_addc_co_u32_e32 v1, vcc, 0, v1, vcc
	v_cmp_le_i64_e32 vcc, s[18:19], v[0:1]
	s_or_b64 s[0:1], vcc, s[0:1]
	s_andn2_b64 exec, exec, s[0:1]
	s_cbranch_execnz .LBB64_26
.LBB64_29:
	s_endpgm
	.section	.rodata,"a",@progbits
	.p2align	6, 0x0
	.amdhsa_kernel _ZN2at4cuda17kernelHistogram1DIaalLi1ELi2ELin1ELNS0_23CUDAHistogramMemoryTypeE0EZNS0_21CUDA_tensor_histogramIaaLb0EEEbNS_6TensorES4_S4_lNS_14AccumulateTypeIT0_Lb1EE4typeES8_NS0_13TensorArgTypeES9_S9_EUllE_EEvNS0_6detail10TensorInfoIT_T1_EESF_NSC_IKS6_SE_EElS8_S8_SE_T6_
		.amdhsa_group_segment_fixed_size 0
		.amdhsa_private_segment_fixed_size 0
		.amdhsa_kernarg_size 1952
		.amdhsa_user_sgpr_count 6
		.amdhsa_user_sgpr_private_segment_buffer 1
		.amdhsa_user_sgpr_dispatch_ptr 0
		.amdhsa_user_sgpr_queue_ptr 0
		.amdhsa_user_sgpr_kernarg_segment_ptr 1
		.amdhsa_user_sgpr_dispatch_id 0
		.amdhsa_user_sgpr_flat_scratch_init 0
		.amdhsa_user_sgpr_kernarg_preload_length 0
		.amdhsa_user_sgpr_kernarg_preload_offset 0
		.amdhsa_user_sgpr_private_segment_size 0
		.amdhsa_uses_dynamic_stack 0
		.amdhsa_system_sgpr_private_segment_wavefront_offset 0
		.amdhsa_system_sgpr_workgroup_id_x 1
		.amdhsa_system_sgpr_workgroup_id_y 0
		.amdhsa_system_sgpr_workgroup_id_z 0
		.amdhsa_system_sgpr_workgroup_info 0
		.amdhsa_system_vgpr_workitem_id 0
		.amdhsa_next_free_vgpr 22
		.amdhsa_next_free_sgpr 50
		.amdhsa_accum_offset 24
		.amdhsa_reserve_vcc 1
		.amdhsa_reserve_flat_scratch 0
		.amdhsa_float_round_mode_32 0
		.amdhsa_float_round_mode_16_64 0
		.amdhsa_float_denorm_mode_32 3
		.amdhsa_float_denorm_mode_16_64 3
		.amdhsa_dx10_clamp 1
		.amdhsa_ieee_mode 1
		.amdhsa_fp16_overflow 0
		.amdhsa_tg_split 0
		.amdhsa_exception_fp_ieee_invalid_op 0
		.amdhsa_exception_fp_denorm_src 0
		.amdhsa_exception_fp_ieee_div_zero 0
		.amdhsa_exception_fp_ieee_overflow 0
		.amdhsa_exception_fp_ieee_underflow 0
		.amdhsa_exception_fp_ieee_inexact 0
		.amdhsa_exception_int_div_zero 0
	.end_amdhsa_kernel
	.section	.text._ZN2at4cuda17kernelHistogram1DIaalLi1ELi2ELin1ELNS0_23CUDAHistogramMemoryTypeE0EZNS0_21CUDA_tensor_histogramIaaLb0EEEbNS_6TensorES4_S4_lNS_14AccumulateTypeIT0_Lb1EE4typeES8_NS0_13TensorArgTypeES9_S9_EUllE_EEvNS0_6detail10TensorInfoIT_T1_EESF_NSC_IKS6_SE_EElS8_S8_SE_T6_,"axG",@progbits,_ZN2at4cuda17kernelHistogram1DIaalLi1ELi2ELin1ELNS0_23CUDAHistogramMemoryTypeE0EZNS0_21CUDA_tensor_histogramIaaLb0EEEbNS_6TensorES4_S4_lNS_14AccumulateTypeIT0_Lb1EE4typeES8_NS0_13TensorArgTypeES9_S9_EUllE_EEvNS0_6detail10TensorInfoIT_T1_EESF_NSC_IKS6_SE_EElS8_S8_SE_T6_,comdat
.Lfunc_end64:
	.size	_ZN2at4cuda17kernelHistogram1DIaalLi1ELi2ELin1ELNS0_23CUDAHistogramMemoryTypeE0EZNS0_21CUDA_tensor_histogramIaaLb0EEEbNS_6TensorES4_S4_lNS_14AccumulateTypeIT0_Lb1EE4typeES8_NS0_13TensorArgTypeES9_S9_EUllE_EEvNS0_6detail10TensorInfoIT_T1_EESF_NSC_IKS6_SE_EElS8_S8_SE_T6_, .Lfunc_end64-_ZN2at4cuda17kernelHistogram1DIaalLi1ELi2ELin1ELNS0_23CUDAHistogramMemoryTypeE0EZNS0_21CUDA_tensor_histogramIaaLb0EEEbNS_6TensorES4_S4_lNS_14AccumulateTypeIT0_Lb1EE4typeES8_NS0_13TensorArgTypeES9_S9_EUllE_EEvNS0_6detail10TensorInfoIT_T1_EESF_NSC_IKS6_SE_EElS8_S8_SE_T6_
                                        ; -- End function
	.section	.AMDGPU.csdata,"",@progbits
; Kernel info:
; codeLenInByte = 2684
; NumSgprs: 54
; NumVgprs: 22
; NumAgprs: 0
; TotalNumVgprs: 22
; ScratchSize: 0
; MemoryBound: 0
; FloatMode: 240
; IeeeMode: 1
; LDSByteSize: 0 bytes/workgroup (compile time only)
; SGPRBlocks: 6
; VGPRBlocks: 2
; NumSGPRsForWavesPerEU: 54
; NumVGPRsForWavesPerEU: 22
; AccumOffset: 24
; Occupancy: 8
; WaveLimiterHint : 1
; COMPUTE_PGM_RSRC2:SCRATCH_EN: 0
; COMPUTE_PGM_RSRC2:USER_SGPR: 6
; COMPUTE_PGM_RSRC2:TRAP_HANDLER: 0
; COMPUTE_PGM_RSRC2:TGID_X_EN: 1
; COMPUTE_PGM_RSRC2:TGID_Y_EN: 0
; COMPUTE_PGM_RSRC2:TGID_Z_EN: 0
; COMPUTE_PGM_RSRC2:TIDIG_COMP_CNT: 0
; COMPUTE_PGM_RSRC3_GFX90A:ACCUM_OFFSET: 5
; COMPUTE_PGM_RSRC3_GFX90A:TG_SPLIT: 0
	.section	.text._ZN2at4cuda17kernelHistogram1DIaalLi1ELi2ELin1ELNS0_23CUDAHistogramMemoryTypeE1EZNS0_21CUDA_tensor_histogramIaaLb0EEEbNS_6TensorES4_S4_lNS_14AccumulateTypeIT0_Lb1EE4typeES8_NS0_13TensorArgTypeES9_S9_EUllE_EEvNS0_6detail10TensorInfoIT_T1_EESF_NSC_IKS6_SE_EElS8_S8_SE_T6_,"axG",@progbits,_ZN2at4cuda17kernelHistogram1DIaalLi1ELi2ELin1ELNS0_23CUDAHistogramMemoryTypeE1EZNS0_21CUDA_tensor_histogramIaaLb0EEEbNS_6TensorES4_S4_lNS_14AccumulateTypeIT0_Lb1EE4typeES8_NS0_13TensorArgTypeES9_S9_EUllE_EEvNS0_6detail10TensorInfoIT_T1_EESF_NSC_IKS6_SE_EElS8_S8_SE_T6_,comdat
	.protected	_ZN2at4cuda17kernelHistogram1DIaalLi1ELi2ELin1ELNS0_23CUDAHistogramMemoryTypeE1EZNS0_21CUDA_tensor_histogramIaaLb0EEEbNS_6TensorES4_S4_lNS_14AccumulateTypeIT0_Lb1EE4typeES8_NS0_13TensorArgTypeES9_S9_EUllE_EEvNS0_6detail10TensorInfoIT_T1_EESF_NSC_IKS6_SE_EElS8_S8_SE_T6_ ; -- Begin function _ZN2at4cuda17kernelHistogram1DIaalLi1ELi2ELin1ELNS0_23CUDAHistogramMemoryTypeE1EZNS0_21CUDA_tensor_histogramIaaLb0EEEbNS_6TensorES4_S4_lNS_14AccumulateTypeIT0_Lb1EE4typeES8_NS0_13TensorArgTypeES9_S9_EUllE_EEvNS0_6detail10TensorInfoIT_T1_EESF_NSC_IKS6_SE_EElS8_S8_SE_T6_
	.globl	_ZN2at4cuda17kernelHistogram1DIaalLi1ELi2ELin1ELNS0_23CUDAHistogramMemoryTypeE1EZNS0_21CUDA_tensor_histogramIaaLb0EEEbNS_6TensorES4_S4_lNS_14AccumulateTypeIT0_Lb1EE4typeES8_NS0_13TensorArgTypeES9_S9_EUllE_EEvNS0_6detail10TensorInfoIT_T1_EESF_NSC_IKS6_SE_EElS8_S8_SE_T6_
	.p2align	8
	.type	_ZN2at4cuda17kernelHistogram1DIaalLi1ELi2ELin1ELNS0_23CUDAHistogramMemoryTypeE1EZNS0_21CUDA_tensor_histogramIaaLb0EEEbNS_6TensorES4_S4_lNS_14AccumulateTypeIT0_Lb1EE4typeES8_NS0_13TensorArgTypeES9_S9_EUllE_EEvNS0_6detail10TensorInfoIT_T1_EESF_NSC_IKS6_SE_EElS8_S8_SE_T6_,@function
_ZN2at4cuda17kernelHistogram1DIaalLi1ELi2ELin1ELNS0_23CUDAHistogramMemoryTypeE1EZNS0_21CUDA_tensor_histogramIaaLb0EEEbNS_6TensorES4_S4_lNS_14AccumulateTypeIT0_Lb1EE4typeES8_NS0_13TensorArgTypeES9_S9_EUllE_EEvNS0_6detail10TensorInfoIT_T1_EESF_NSC_IKS6_SE_EElS8_S8_SE_T6_: ; @_ZN2at4cuda17kernelHistogram1DIaalLi1ELi2ELin1ELNS0_23CUDAHistogramMemoryTypeE1EZNS0_21CUDA_tensor_histogramIaaLb0EEEbNS_6TensorES4_S4_lNS_14AccumulateTypeIT0_Lb1EE4typeES8_NS0_13TensorArgTypeES9_S9_EUllE_EEvNS0_6detail10TensorInfoIT_T1_EESF_NSC_IKS6_SE_EElS8_S8_SE_T6_
; %bb.0:
	s_load_dword s2, s[4:5], 0x6ac
	s_load_dwordx8 s[8:15], s[4:5], 0x4e0
	s_add_u32 s0, s4, 0x6a0
	s_addc_u32 s1, s5, 0
	v_mov_b32_e32 v2, 0
	s_waitcnt lgkmcnt(0)
	s_and_b32 s2, s2, 0xffff
	s_mul_i32 s6, s6, s2
	v_add_u32_e32 v0, s6, v0
	v_mov_b32_e32 v1, v2
	v_cmp_gt_i64_e32 vcc, s[14:15], v[0:1]
	s_and_saveexec_b64 s[6:7], vcc
	s_cbranch_execz .LBB65_17
; %bb.1:
	s_load_dwordx2 s[6:7], s[4:5], 0x5d0
	s_load_dwordx2 s[16:17], s[4:5], 0x500
	s_load_dword s3, s[4:5], 0x4d8
	s_load_dwordx2 s[18:19], s[4:5], 0x0
	s_load_dwordx2 s[20:21], s[4:5], 0xd0
	s_load_dword s28, s[0:1], 0x0
	s_add_u32 s26, s4, 0x340
	s_addc_u32 s27, s5, 0
	s_mov_b32 s42, 0
	s_waitcnt lgkmcnt(0)
	s_cmp_gt_i32 s3, 1
	s_cselect_b64 s[0:1], -1, 0
	s_sub_u32 s33, s12, s10
	s_subb_u32 s40, s13, s11
	s_mul_i32 s41, s28, s2
	s_add_i32 s43, s3, 1
	s_add_i32 s2, s3, -1
	s_mov_b32 s3, s42
	s_load_dwordx2 s[22:23], s[4:5], 0x410
	s_load_dwordx2 s[24:25], s[4:5], 0x340
	s_lshl_b64 s[2:3], s[2:3], 3
	s_add_u32 s2, s2, s26
	s_addc_u32 s3, s3, s27
	s_add_u32 s4, s2, 8
	v_cndmask_b32_e64 v3, 0, 1, s[0:1]
	s_addc_u32 s5, s3, 0
	s_mov_b64 s[26:27], 0
	s_movk_i32 s44, 0xff
	v_cmp_ne_u32_e64 s[0:1], 1, v3
	s_branch .LBB65_3
.LBB65_2:                               ;   in Loop: Header=BB65_3 Depth=1
	s_or_b64 exec, exec, s[28:29]
	v_mov_b32_e32 v3, s42
	v_add_co_u32_e32 v0, vcc, s41, v0
	v_addc_co_u32_e32 v1, vcc, v1, v3, vcc
	v_cmp_le_i64_e32 vcc, s[14:15], v[0:1]
	s_or_b64 s[26:27], vcc, s[26:27]
	s_andn2_b64 exec, exec, s[26:27]
	s_cbranch_execz .LBB65_17
.LBB65_3:                               ; =>This Loop Header: Depth=1
                                        ;     Child Loop BB65_4 Depth 2
                                        ;     Child Loop BB65_16 Depth 2
	s_and_b64 vcc, exec, s[0:1]
	v_pk_mov_b32 v[4:5], 0, 0
	s_mov_b64 s[28:29], s[4:5]
	s_mov_b32 s45, s43
	v_pk_mov_b32 v[6:7], v[0:1], v[0:1] op_sel:[0,1]
	v_pk_mov_b32 v[8:9], v[0:1], v[0:1] op_sel:[0,1]
	s_cbranch_vccnz .LBB65_10
.LBB65_4:                               ;   Parent Loop BB65_3 Depth=1
                                        ; =>  This Inner Loop Header: Depth=2
	s_load_dwordx2 s[30:31], s[28:29], 0x0
                                        ; implicit-def: $vgpr8_vgpr9
	s_waitcnt lgkmcnt(0)
	v_or_b32_e32 v3, s31, v7
	v_cmp_ne_u64_e32 vcc, 0, v[2:3]
	s_and_saveexec_b64 s[2:3], vcc
	s_xor_b64 s[34:35], exec, s[2:3]
	s_cbranch_execz .LBB65_6
; %bb.5:                                ;   in Loop: Header=BB65_4 Depth=2
	s_ashr_i32 s36, s31, 31
	s_add_u32 s2, s30, s36
	s_mov_b32 s37, s36
	s_addc_u32 s3, s31, s36
	s_xor_b64 s[38:39], s[2:3], s[36:37]
	v_cvt_f32_u32_e32 v3, s38
	v_cvt_f32_u32_e32 v8, s39
	s_sub_u32 s2, 0, s38
	s_subb_u32 s3, 0, s39
	v_mac_f32_e32 v3, 0x4f800000, v8
	v_rcp_f32_e32 v3, v3
	v_mul_f32_e32 v3, 0x5f7ffffc, v3
	v_mul_f32_e32 v8, 0x2f800000, v3
	v_trunc_f32_e32 v8, v8
	v_mac_f32_e32 v3, 0xcf800000, v8
	v_cvt_u32_f32_e32 v8, v8
	v_cvt_u32_f32_e32 v3, v3
	v_mul_lo_u32 v9, s2, v8
	v_mul_hi_u32 v11, s2, v3
	v_mul_lo_u32 v10, s3, v3
	v_add_u32_e32 v9, v11, v9
	v_mul_lo_u32 v12, s2, v3
	v_add_u32_e32 v9, v9, v10
	v_mul_lo_u32 v11, v3, v9
	v_mul_hi_u32 v13, v3, v12
	v_mul_hi_u32 v10, v3, v9
	v_add_co_u32_e32 v11, vcc, v13, v11
	v_addc_co_u32_e32 v10, vcc, 0, v10, vcc
	v_mul_hi_u32 v14, v8, v12
	v_mul_lo_u32 v12, v8, v12
	v_add_co_u32_e32 v11, vcc, v11, v12
	v_mul_hi_u32 v13, v8, v9
	v_addc_co_u32_e32 v10, vcc, v10, v14, vcc
	v_addc_co_u32_e32 v11, vcc, 0, v13, vcc
	v_mul_lo_u32 v9, v8, v9
	v_add_co_u32_e32 v9, vcc, v10, v9
	v_addc_co_u32_e32 v10, vcc, 0, v11, vcc
	v_add_co_u32_e32 v3, vcc, v3, v9
	v_addc_co_u32_e32 v8, vcc, v8, v10, vcc
	v_mul_lo_u32 v9, s2, v8
	v_mul_hi_u32 v10, s2, v3
	v_add_u32_e32 v9, v10, v9
	v_mul_lo_u32 v10, s3, v3
	v_add_u32_e32 v9, v9, v10
	v_mul_lo_u32 v11, s2, v3
	v_mul_hi_u32 v12, v8, v11
	v_mul_lo_u32 v13, v8, v11
	v_mul_lo_u32 v15, v3, v9
	v_mul_hi_u32 v11, v3, v11
	v_mul_hi_u32 v14, v3, v9
	v_add_co_u32_e32 v11, vcc, v11, v15
	v_addc_co_u32_e32 v14, vcc, 0, v14, vcc
	v_add_co_u32_e32 v11, vcc, v11, v13
	v_mul_hi_u32 v10, v8, v9
	v_addc_co_u32_e32 v11, vcc, v14, v12, vcc
	v_addc_co_u32_e32 v10, vcc, 0, v10, vcc
	v_mul_lo_u32 v9, v8, v9
	v_add_co_u32_e32 v9, vcc, v11, v9
	v_addc_co_u32_e32 v10, vcc, 0, v10, vcc
	v_add_co_u32_e32 v3, vcc, v3, v9
	v_addc_co_u32_e32 v10, vcc, v8, v10, vcc
	v_ashrrev_i32_e32 v12, 31, v7
	v_add_co_u32_e32 v8, vcc, v6, v12
	v_addc_co_u32_e32 v9, vcc, v7, v12, vcc
	v_xor_b32_e32 v14, v8, v12
	v_xor_b32_e32 v13, v9, v12
	v_mad_u64_u32 v[8:9], s[2:3], v14, v10, 0
	v_mul_hi_u32 v11, v14, v3
	v_add_co_u32_e32 v15, vcc, v11, v8
	v_addc_co_u32_e32 v16, vcc, 0, v9, vcc
	v_mad_u64_u32 v[8:9], s[2:3], v13, v10, 0
	v_mad_u64_u32 v[10:11], s[2:3], v13, v3, 0
	v_add_co_u32_e32 v3, vcc, v15, v10
	v_addc_co_u32_e32 v3, vcc, v16, v11, vcc
	v_addc_co_u32_e32 v9, vcc, 0, v9, vcc
	v_add_co_u32_e32 v3, vcc, v3, v8
	v_addc_co_u32_e32 v10, vcc, 0, v9, vcc
	v_mul_lo_u32 v11, s39, v3
	v_mul_lo_u32 v15, s38, v10
	v_mad_u64_u32 v[8:9], s[2:3], s38, v3, 0
	v_add3_u32 v9, v9, v15, v11
	v_sub_u32_e32 v11, v13, v9
	v_mov_b32_e32 v15, s39
	v_sub_co_u32_e32 v8, vcc, v14, v8
	v_subb_co_u32_e64 v11, s[2:3], v11, v15, vcc
	v_subrev_co_u32_e64 v14, s[2:3], s38, v8
	v_subbrev_co_u32_e64 v11, s[2:3], 0, v11, s[2:3]
	v_cmp_le_u32_e64 s[2:3], s39, v11
	v_cndmask_b32_e64 v15, 0, -1, s[2:3]
	v_cmp_le_u32_e64 s[2:3], s38, v14
	v_cndmask_b32_e64 v14, 0, -1, s[2:3]
	v_cmp_eq_u32_e64 s[2:3], s39, v11
	v_cndmask_b32_e64 v11, v15, v14, s[2:3]
	v_add_co_u32_e64 v14, s[2:3], 2, v3
	v_subb_co_u32_e32 v9, vcc, v13, v9, vcc
	v_addc_co_u32_e64 v15, s[2:3], 0, v10, s[2:3]
	v_cmp_le_u32_e32 vcc, s39, v9
	v_add_co_u32_e64 v16, s[2:3], 1, v3
	v_cndmask_b32_e64 v13, 0, -1, vcc
	v_cmp_le_u32_e32 vcc, s38, v8
	v_addc_co_u32_e64 v17, s[2:3], 0, v10, s[2:3]
	v_cndmask_b32_e64 v8, 0, -1, vcc
	v_cmp_eq_u32_e32 vcc, s39, v9
	v_cmp_ne_u32_e64 s[2:3], 0, v11
	v_cndmask_b32_e32 v8, v13, v8, vcc
	v_cmp_ne_u32_e32 vcc, 0, v8
	v_cndmask_b32_e64 v9, v16, v14, s[2:3]
	v_cndmask_b32_e64 v11, v17, v15, s[2:3]
	v_cndmask_b32_e32 v3, v3, v9, vcc
	v_xor_b32_e32 v9, s36, v12
	v_cndmask_b32_e32 v8, v10, v11, vcc
	v_xor_b32_e32 v3, v3, v9
	v_xor_b32_e32 v10, v8, v9
	v_sub_co_u32_e32 v8, vcc, v3, v9
	v_subb_co_u32_e32 v9, vcc, v10, v9, vcc
.LBB65_6:                               ;   in Loop: Header=BB65_4 Depth=2
	s_andn2_saveexec_b64 s[2:3], s[34:35]
	s_cbranch_execz .LBB65_8
; %bb.7:                                ;   in Loop: Header=BB65_4 Depth=2
	v_cvt_f32_u32_e32 v3, s30
	s_sub_i32 s34, 0, s30
	v_rcp_iflag_f32_e32 v3, v3
	v_mul_f32_e32 v3, 0x4f7ffffe, v3
	v_cvt_u32_f32_e32 v3, v3
	v_mul_lo_u32 v8, s34, v3
	v_mul_hi_u32 v8, v3, v8
	v_add_u32_e32 v3, v3, v8
	v_mul_hi_u32 v3, v6, v3
	v_mul_lo_u32 v8, v3, s30
	v_sub_u32_e32 v8, v6, v8
	v_add_u32_e32 v9, 1, v3
	v_subrev_u32_e32 v10, s30, v8
	v_cmp_le_u32_e32 vcc, s30, v8
	v_cndmask_b32_e32 v8, v8, v10, vcc
	v_cndmask_b32_e32 v3, v3, v9, vcc
	v_add_u32_e32 v9, 1, v3
	v_cmp_le_u32_e32 vcc, s30, v8
	v_cndmask_b32_e32 v8, v3, v9, vcc
	v_mov_b32_e32 v9, v2
.LBB65_8:                               ;   in Loop: Header=BB65_4 Depth=2
	s_or_b64 exec, exec, s[2:3]
	v_mad_u64_u32 v[10:11], s[2:3], v8, s30, 0
	s_load_dwordx2 s[2:3], s[28:29], 0xc8
	v_mul_lo_u32 v3, v9, s30
	v_mul_lo_u32 v12, v8, s31
	v_add3_u32 v3, v11, v12, v3
	v_sub_co_u32_e32 v6, vcc, v6, v10
	s_add_i32 s45, s45, -1
	v_subb_co_u32_e32 v3, vcc, v7, v3, vcc
	s_add_u32 s28, s28, -8
	s_waitcnt lgkmcnt(0)
	v_mul_lo_u32 v3, s2, v3
	v_mul_lo_u32 v7, s3, v6
	v_mad_u64_u32 v[4:5], s[2:3], s2, v6, v[4:5]
	s_addc_u32 s29, s29, -1
	s_cmp_gt_u32 s45, 2
	v_add3_u32 v5, v7, v5, v3
	s_cbranch_scc0 .LBB65_10
; %bb.9:                                ;   in Loop: Header=BB65_4 Depth=2
	v_pk_mov_b32 v[6:7], v[8:9], v[8:9] op_sel:[0,1]
	s_branch .LBB65_4
.LBB65_10:                              ;   in Loop: Header=BB65_3 Depth=1
	s_waitcnt lgkmcnt(0)
	v_pk_mov_b32 v[6:7], s[24:25], s[24:25] op_sel:[0,1]
	v_mad_u64_u32 v[6:7], s[2:3], s22, v8, v[6:7]
	v_mul_lo_u32 v3, s22, v9
	v_mul_lo_u32 v8, s23, v8
	v_add3_u32 v3, v8, v7, v3
	v_add_co_u32_e32 v4, vcc, v6, v4
	v_addc_co_u32_e32 v5, vcc, v3, v5, vcc
	global_load_sbyte v3, v[4:5], off
	s_waitcnt vmcnt(0)
	v_bfe_i32 v4, v3, 0, 16
	v_ashrrev_i32_e32 v5, 31, v4
	v_cmp_le_i64_e32 vcc, s[10:11], v[4:5]
	v_cmp_ge_i64_e64 s[2:3], s[12:13], v[4:5]
	s_and_b64 s[2:3], vcc, s[2:3]
	s_and_saveexec_b64 s[28:29], s[2:3]
	s_cbranch_execz .LBB65_2
; %bb.11:                               ;   in Loop: Header=BB65_3 Depth=1
	v_mov_b32_e32 v3, s11
	v_subrev_co_u32_e32 v4, vcc, s10, v4
	v_subb_co_u32_e32 v3, vcc, v5, v3, vcc
	v_mul_lo_u32 v3, v3, s8
	v_mul_lo_u32 v6, v4, s9
	v_mad_u64_u32 v[4:5], s[2:3], v4, s8, 0
	v_add3_u32 v5, v5, v6, v3
	v_or_b32_e32 v3, s40, v5
	v_cmp_ne_u64_e32 vcc, 0, v[2:3]
                                        ; implicit-def: $vgpr6_vgpr7
	s_and_saveexec_b64 s[2:3], vcc
	s_xor_b64 s[30:31], exec, s[2:3]
	s_cbranch_execz .LBB65_13
; %bb.12:                               ;   in Loop: Header=BB65_3 Depth=1
	s_ashr_i32 s34, s40, 31
	s_add_u32 s2, s33, s34
	s_mov_b32 s35, s34
	s_addc_u32 s3, s40, s34
	s_xor_b64 s[36:37], s[2:3], s[34:35]
	v_cvt_f32_u32_e32 v3, s36
	v_cvt_f32_u32_e32 v6, s37
	s_sub_u32 s2, 0, s36
	s_subb_u32 s3, 0, s37
	v_mac_f32_e32 v3, 0x4f800000, v6
	v_rcp_f32_e32 v3, v3
	v_mul_f32_e32 v3, 0x5f7ffffc, v3
	v_mul_f32_e32 v6, 0x2f800000, v3
	v_trunc_f32_e32 v6, v6
	v_mac_f32_e32 v3, 0xcf800000, v6
	v_cvt_u32_f32_e32 v6, v6
	v_cvt_u32_f32_e32 v3, v3
	v_mul_lo_u32 v7, s2, v6
	v_mul_hi_u32 v9, s2, v3
	v_mul_lo_u32 v8, s3, v3
	v_add_u32_e32 v7, v9, v7
	v_mul_lo_u32 v10, s2, v3
	v_add_u32_e32 v7, v7, v8
	v_mul_lo_u32 v9, v3, v7
	v_mul_hi_u32 v11, v3, v10
	v_mul_hi_u32 v8, v3, v7
	v_add_co_u32_e32 v9, vcc, v11, v9
	v_addc_co_u32_e32 v8, vcc, 0, v8, vcc
	v_mul_hi_u32 v12, v6, v10
	v_mul_lo_u32 v10, v6, v10
	v_add_co_u32_e32 v9, vcc, v9, v10
	v_mul_hi_u32 v11, v6, v7
	v_addc_co_u32_e32 v8, vcc, v8, v12, vcc
	v_addc_co_u32_e32 v9, vcc, 0, v11, vcc
	v_mul_lo_u32 v7, v6, v7
	v_add_co_u32_e32 v7, vcc, v8, v7
	v_addc_co_u32_e32 v8, vcc, 0, v9, vcc
	v_add_co_u32_e32 v3, vcc, v3, v7
	v_addc_co_u32_e32 v6, vcc, v6, v8, vcc
	v_mul_lo_u32 v7, s2, v6
	v_mul_hi_u32 v8, s2, v3
	v_add_u32_e32 v7, v8, v7
	v_mul_lo_u32 v8, s3, v3
	v_add_u32_e32 v7, v7, v8
	v_mul_lo_u32 v9, s2, v3
	v_mul_hi_u32 v10, v6, v9
	v_mul_lo_u32 v11, v6, v9
	v_mul_lo_u32 v13, v3, v7
	v_mul_hi_u32 v9, v3, v9
	v_mul_hi_u32 v12, v3, v7
	v_add_co_u32_e32 v9, vcc, v9, v13
	v_addc_co_u32_e32 v12, vcc, 0, v12, vcc
	v_add_co_u32_e32 v9, vcc, v9, v11
	v_mul_hi_u32 v8, v6, v7
	v_addc_co_u32_e32 v9, vcc, v12, v10, vcc
	v_addc_co_u32_e32 v8, vcc, 0, v8, vcc
	v_mul_lo_u32 v7, v6, v7
	v_add_co_u32_e32 v7, vcc, v9, v7
	v_addc_co_u32_e32 v8, vcc, 0, v8, vcc
	v_add_co_u32_e32 v3, vcc, v3, v7
	v_addc_co_u32_e32 v6, vcc, v6, v8, vcc
	v_ashrrev_i32_e32 v8, 31, v5
	v_add_co_u32_e32 v4, vcc, v4, v8
	v_addc_co_u32_e32 v5, vcc, v5, v8, vcc
	v_xor_b32_e32 v10, v4, v8
	v_xor_b32_e32 v9, v5, v8
	v_mad_u64_u32 v[4:5], s[2:3], v10, v6, 0
	v_mul_hi_u32 v7, v10, v3
	v_add_co_u32_e32 v11, vcc, v7, v4
	v_addc_co_u32_e32 v12, vcc, 0, v5, vcc
	v_mad_u64_u32 v[4:5], s[2:3], v9, v6, 0
	v_mad_u64_u32 v[6:7], s[2:3], v9, v3, 0
	v_add_co_u32_e32 v3, vcc, v11, v6
	v_addc_co_u32_e32 v3, vcc, v12, v7, vcc
	v_addc_co_u32_e32 v5, vcc, 0, v5, vcc
	v_add_co_u32_e32 v3, vcc, v3, v4
	v_addc_co_u32_e32 v4, vcc, 0, v5, vcc
	v_mul_lo_u32 v6, s37, v3
	v_mul_lo_u32 v7, s36, v4
	v_mad_u64_u32 v[4:5], s[2:3], s36, v3, 0
	v_add3_u32 v5, v5, v7, v6
	v_sub_u32_e32 v6, v9, v5
	v_mov_b32_e32 v7, s37
	v_sub_co_u32_e32 v4, vcc, v10, v4
	v_subb_co_u32_e64 v6, s[2:3], v6, v7, vcc
	v_subrev_co_u32_e64 v7, s[2:3], s36, v4
	v_subbrev_co_u32_e64 v6, s[2:3], 0, v6, s[2:3]
	v_cmp_le_u32_e64 s[2:3], s37, v6
	v_subb_co_u32_e32 v5, vcc, v9, v5, vcc
	v_cndmask_b32_e64 v10, 0, -1, s[2:3]
	v_cmp_le_u32_e64 s[2:3], s36, v7
	v_cmp_le_u32_e32 vcc, s37, v5
	v_cndmask_b32_e64 v7, 0, -1, s[2:3]
	v_cmp_eq_u32_e64 s[2:3], s37, v6
	v_cndmask_b32_e64 v9, 0, -1, vcc
	v_cmp_le_u32_e32 vcc, s36, v4
	v_cndmask_b32_e64 v6, v10, v7, s[2:3]
	v_cndmask_b32_e64 v4, 0, -1, vcc
	v_cmp_eq_u32_e32 vcc, s37, v5
	v_add_co_u32_e64 v7, s[2:3], 2, v3
	v_add_co_u32_e64 v10, s[2:3], 1, v3
	v_cndmask_b32_e32 v4, v9, v4, vcc
	v_cmp_ne_u32_e32 vcc, 0, v6
	v_cndmask_b32_e32 v5, v10, v7, vcc
	v_cmp_ne_u32_e32 vcc, 0, v4
	v_cndmask_b32_e32 v3, v3, v5, vcc
	v_xor_b32_e32 v4, s34, v8
	v_xor_b32_e32 v3, v3, v4
	v_sub_co_u32_e32 v6, vcc, v3, v4
                                        ; implicit-def: $vgpr4_vgpr5
.LBB65_13:                              ;   in Loop: Header=BB65_3 Depth=1
	s_andn2_saveexec_b64 s[2:3], s[30:31]
	s_cbranch_execz .LBB65_15
; %bb.14:                               ;   in Loop: Header=BB65_3 Depth=1
	v_cvt_f32_u32_e32 v3, s33
	s_sub_i32 s30, 0, s33
	v_rcp_iflag_f32_e32 v3, v3
	v_mul_f32_e32 v3, 0x4f7ffffe, v3
	v_cvt_u32_f32_e32 v3, v3
	v_mul_lo_u32 v5, s30, v3
	v_mul_hi_u32 v5, v3, v5
	v_add_u32_e32 v3, v3, v5
	v_mul_hi_u32 v3, v4, v3
	v_mul_lo_u32 v5, v3, s33
	v_sub_u32_e32 v4, v4, v5
	v_add_u32_e32 v6, 1, v3
	v_subrev_u32_e32 v5, s33, v4
	v_cmp_le_u32_e32 vcc, s33, v4
	v_cndmask_b32_e32 v4, v4, v5, vcc
	v_cndmask_b32_e32 v3, v3, v6, vcc
	v_add_u32_e32 v5, 1, v3
	v_cmp_le_u32_e32 vcc, s33, v4
	v_cndmask_b32_e32 v6, v3, v5, vcc
.LBB65_15:                              ;   in Loop: Header=BB65_3 Depth=1
	s_or_b64 exec, exec, s[2:3]
	v_ashrrev_i32_e32 v7, 31, v6
	v_cmp_eq_u64_e32 vcc, s[8:9], v[6:7]
	v_cndmask_b32_e64 v3, 0, 1, vcc
	v_sub_co_u32_e32 v3, vcc, v6, v3
	v_subbrev_co_u32_e32 v4, vcc, 0, v7, vcc
	v_mul_lo_u32 v9, v4, s20
	v_pk_mov_b32 v[4:5], s[18:19], s[18:19] op_sel:[0,1]
	v_mul_lo_u32 v8, v3, s21
	v_mad_u64_u32 v[6:7], s[2:3], v3, s20, v[4:5]
	v_add3_u32 v5, v9, v7, v8
	v_pk_mov_b32 v[8:9], s[16:17], s[16:17] op_sel:[0,1]
	v_mad_u64_u32 v[8:9], s[2:3], v0, s6, v[8:9]
	v_mul_lo_u32 v3, v0, s7
	v_mul_lo_u32 v4, v1, s6
	v_add3_u32 v9, v4, v9, v3
	v_and_b32_e32 v4, -4, v6
	global_load_ubyte v3, v[8:9], off
	global_load_dword v7, v[4:5], off
	v_and_b32_e32 v6, 3, v6
	v_lshlrev_b32_e32 v8, 3, v6
	v_lshlrev_b32_e64 v6, v8, s44
	v_not_b32_e32 v9, v6
	s_mov_b64 s[2:3], 0
.LBB65_16:                              ;   Parent Loop BB65_3 Depth=1
                                        ; =>  This Inner Loop Header: Depth=2
	s_waitcnt vmcnt(0)
	v_lshrrev_b32_e32 v6, v8, v7
	v_add_u16_e32 v6, v3, v6
	v_and_b32_e32 v10, v7, v9
	v_and_b32_e32 v6, 0xff, v6
	v_lshl_or_b32 v6, v6, v8, v10
	global_atomic_cmpswap v6, v[4:5], v[6:7], off glc
	s_waitcnt vmcnt(0)
	v_cmp_eq_u32_e32 vcc, v7, v6
	s_or_b64 s[2:3], vcc, s[2:3]
	v_mov_b32_e32 v7, v6
	s_andn2_b64 exec, exec, s[2:3]
	s_cbranch_execnz .LBB65_16
	s_branch .LBB65_2
.LBB65_17:
	s_endpgm
	.section	.rodata,"a",@progbits
	.p2align	6, 0x0
	.amdhsa_kernel _ZN2at4cuda17kernelHistogram1DIaalLi1ELi2ELin1ELNS0_23CUDAHistogramMemoryTypeE1EZNS0_21CUDA_tensor_histogramIaaLb0EEEbNS_6TensorES4_S4_lNS_14AccumulateTypeIT0_Lb1EE4typeES8_NS0_13TensorArgTypeES9_S9_EUllE_EEvNS0_6detail10TensorInfoIT_T1_EESF_NSC_IKS6_SE_EElS8_S8_SE_T6_
		.amdhsa_group_segment_fixed_size 0
		.amdhsa_private_segment_fixed_size 0
		.amdhsa_kernarg_size 1952
		.amdhsa_user_sgpr_count 6
		.amdhsa_user_sgpr_private_segment_buffer 1
		.amdhsa_user_sgpr_dispatch_ptr 0
		.amdhsa_user_sgpr_queue_ptr 0
		.amdhsa_user_sgpr_kernarg_segment_ptr 1
		.amdhsa_user_sgpr_dispatch_id 0
		.amdhsa_user_sgpr_flat_scratch_init 0
		.amdhsa_user_sgpr_kernarg_preload_length 0
		.amdhsa_user_sgpr_kernarg_preload_offset 0
		.amdhsa_user_sgpr_private_segment_size 0
		.amdhsa_uses_dynamic_stack 0
		.amdhsa_system_sgpr_private_segment_wavefront_offset 0
		.amdhsa_system_sgpr_workgroup_id_x 1
		.amdhsa_system_sgpr_workgroup_id_y 0
		.amdhsa_system_sgpr_workgroup_id_z 0
		.amdhsa_system_sgpr_workgroup_info 0
		.amdhsa_system_vgpr_workitem_id 0
		.amdhsa_next_free_vgpr 18
		.amdhsa_next_free_sgpr 46
		.amdhsa_accum_offset 20
		.amdhsa_reserve_vcc 1
		.amdhsa_reserve_flat_scratch 0
		.amdhsa_float_round_mode_32 0
		.amdhsa_float_round_mode_16_64 0
		.amdhsa_float_denorm_mode_32 3
		.amdhsa_float_denorm_mode_16_64 3
		.amdhsa_dx10_clamp 1
		.amdhsa_ieee_mode 1
		.amdhsa_fp16_overflow 0
		.amdhsa_tg_split 0
		.amdhsa_exception_fp_ieee_invalid_op 0
		.amdhsa_exception_fp_denorm_src 0
		.amdhsa_exception_fp_ieee_div_zero 0
		.amdhsa_exception_fp_ieee_overflow 0
		.amdhsa_exception_fp_ieee_underflow 0
		.amdhsa_exception_fp_ieee_inexact 0
		.amdhsa_exception_int_div_zero 0
	.end_amdhsa_kernel
	.section	.text._ZN2at4cuda17kernelHistogram1DIaalLi1ELi2ELin1ELNS0_23CUDAHistogramMemoryTypeE1EZNS0_21CUDA_tensor_histogramIaaLb0EEEbNS_6TensorES4_S4_lNS_14AccumulateTypeIT0_Lb1EE4typeES8_NS0_13TensorArgTypeES9_S9_EUllE_EEvNS0_6detail10TensorInfoIT_T1_EESF_NSC_IKS6_SE_EElS8_S8_SE_T6_,"axG",@progbits,_ZN2at4cuda17kernelHistogram1DIaalLi1ELi2ELin1ELNS0_23CUDAHistogramMemoryTypeE1EZNS0_21CUDA_tensor_histogramIaaLb0EEEbNS_6TensorES4_S4_lNS_14AccumulateTypeIT0_Lb1EE4typeES8_NS0_13TensorArgTypeES9_S9_EUllE_EEvNS0_6detail10TensorInfoIT_T1_EESF_NSC_IKS6_SE_EElS8_S8_SE_T6_,comdat
.Lfunc_end65:
	.size	_ZN2at4cuda17kernelHistogram1DIaalLi1ELi2ELin1ELNS0_23CUDAHistogramMemoryTypeE1EZNS0_21CUDA_tensor_histogramIaaLb0EEEbNS_6TensorES4_S4_lNS_14AccumulateTypeIT0_Lb1EE4typeES8_NS0_13TensorArgTypeES9_S9_EUllE_EEvNS0_6detail10TensorInfoIT_T1_EESF_NSC_IKS6_SE_EElS8_S8_SE_T6_, .Lfunc_end65-_ZN2at4cuda17kernelHistogram1DIaalLi1ELi2ELin1ELNS0_23CUDAHistogramMemoryTypeE1EZNS0_21CUDA_tensor_histogramIaaLb0EEEbNS_6TensorES4_S4_lNS_14AccumulateTypeIT0_Lb1EE4typeES8_NS0_13TensorArgTypeES9_S9_EUllE_EEvNS0_6detail10TensorInfoIT_T1_EESF_NSC_IKS6_SE_EElS8_S8_SE_T6_
                                        ; -- End function
	.section	.AMDGPU.csdata,"",@progbits
; Kernel info:
; codeLenInByte = 2348
; NumSgprs: 50
; NumVgprs: 18
; NumAgprs: 0
; TotalNumVgprs: 18
; ScratchSize: 0
; MemoryBound: 0
; FloatMode: 240
; IeeeMode: 1
; LDSByteSize: 0 bytes/workgroup (compile time only)
; SGPRBlocks: 6
; VGPRBlocks: 2
; NumSGPRsForWavesPerEU: 50
; NumVGPRsForWavesPerEU: 18
; AccumOffset: 20
; Occupancy: 8
; WaveLimiterHint : 1
; COMPUTE_PGM_RSRC2:SCRATCH_EN: 0
; COMPUTE_PGM_RSRC2:USER_SGPR: 6
; COMPUTE_PGM_RSRC2:TRAP_HANDLER: 0
; COMPUTE_PGM_RSRC2:TGID_X_EN: 1
; COMPUTE_PGM_RSRC2:TGID_Y_EN: 0
; COMPUTE_PGM_RSRC2:TGID_Z_EN: 0
; COMPUTE_PGM_RSRC2:TIDIG_COMP_CNT: 0
; COMPUTE_PGM_RSRC3_GFX90A:ACCUM_OFFSET: 4
; COMPUTE_PGM_RSRC3_GFX90A:TG_SPLIT: 0
	.section	.text._ZN2at4cuda17kernelHistogram1DIaalLi1ELi2ELin1ELNS0_23CUDAHistogramMemoryTypeE0EZNS0_21CUDA_tensor_histogramIaaLb0EEEbNS_6TensorES4_S4_lNS_14AccumulateTypeIT0_Lb1EE4typeES8_NS0_13TensorArgTypeES9_S9_EUllE0_EEvNS0_6detail10TensorInfoIT_T1_EESF_NSC_IKS6_SE_EElS8_S8_SE_T6_,"axG",@progbits,_ZN2at4cuda17kernelHistogram1DIaalLi1ELi2ELin1ELNS0_23CUDAHistogramMemoryTypeE0EZNS0_21CUDA_tensor_histogramIaaLb0EEEbNS_6TensorES4_S4_lNS_14AccumulateTypeIT0_Lb1EE4typeES8_NS0_13TensorArgTypeES9_S9_EUllE0_EEvNS0_6detail10TensorInfoIT_T1_EESF_NSC_IKS6_SE_EElS8_S8_SE_T6_,comdat
	.protected	_ZN2at4cuda17kernelHistogram1DIaalLi1ELi2ELin1ELNS0_23CUDAHistogramMemoryTypeE0EZNS0_21CUDA_tensor_histogramIaaLb0EEEbNS_6TensorES4_S4_lNS_14AccumulateTypeIT0_Lb1EE4typeES8_NS0_13TensorArgTypeES9_S9_EUllE0_EEvNS0_6detail10TensorInfoIT_T1_EESF_NSC_IKS6_SE_EElS8_S8_SE_T6_ ; -- Begin function _ZN2at4cuda17kernelHistogram1DIaalLi1ELi2ELin1ELNS0_23CUDAHistogramMemoryTypeE0EZNS0_21CUDA_tensor_histogramIaaLb0EEEbNS_6TensorES4_S4_lNS_14AccumulateTypeIT0_Lb1EE4typeES8_NS0_13TensorArgTypeES9_S9_EUllE0_EEvNS0_6detail10TensorInfoIT_T1_EESF_NSC_IKS6_SE_EElS8_S8_SE_T6_
	.globl	_ZN2at4cuda17kernelHistogram1DIaalLi1ELi2ELin1ELNS0_23CUDAHistogramMemoryTypeE0EZNS0_21CUDA_tensor_histogramIaaLb0EEEbNS_6TensorES4_S4_lNS_14AccumulateTypeIT0_Lb1EE4typeES8_NS0_13TensorArgTypeES9_S9_EUllE0_EEvNS0_6detail10TensorInfoIT_T1_EESF_NSC_IKS6_SE_EElS8_S8_SE_T6_
	.p2align	8
	.type	_ZN2at4cuda17kernelHistogram1DIaalLi1ELi2ELin1ELNS0_23CUDAHistogramMemoryTypeE0EZNS0_21CUDA_tensor_histogramIaaLb0EEEbNS_6TensorES4_S4_lNS_14AccumulateTypeIT0_Lb1EE4typeES8_NS0_13TensorArgTypeES9_S9_EUllE0_EEvNS0_6detail10TensorInfoIT_T1_EESF_NSC_IKS6_SE_EElS8_S8_SE_T6_,@function
_ZN2at4cuda17kernelHistogram1DIaalLi1ELi2ELin1ELNS0_23CUDAHistogramMemoryTypeE0EZNS0_21CUDA_tensor_histogramIaaLb0EEEbNS_6TensorES4_S4_lNS_14AccumulateTypeIT0_Lb1EE4typeES8_NS0_13TensorArgTypeES9_S9_EUllE0_EEvNS0_6detail10TensorInfoIT_T1_EESF_NSC_IKS6_SE_EElS8_S8_SE_T6_: ; @_ZN2at4cuda17kernelHistogram1DIaalLi1ELi2ELin1ELNS0_23CUDAHistogramMemoryTypeE0EZNS0_21CUDA_tensor_histogramIaaLb0EEEbNS_6TensorES4_S4_lNS_14AccumulateTypeIT0_Lb1EE4typeES8_NS0_13TensorArgTypeES9_S9_EUllE0_EEvNS0_6detail10TensorInfoIT_T1_EESF_NSC_IKS6_SE_EElS8_S8_SE_T6_
; %bb.0:
	s_load_dwordx4 s[16:19], s[4:5], 0x0
	v_mov_b32_e32 v1, 0
	s_add_u32 s2, s4, 0x508
	s_addc_u32 s3, s5, 0
                                        ; implicit-def: $sgpr10
                                        ; implicit-def: $sgpr7
	s_waitcnt lgkmcnt(0)
	v_cmp_gt_i64_e64 s[0:1], s[18:19], v[0:1]
	v_cmp_le_i64_e32 vcc, s[18:19], v[0:1]
	s_and_saveexec_b64 s[8:9], vcc
	s_xor_b64 s[8:9], exec, s[8:9]
	s_cbranch_execz .LBB66_2
; %bb.1:
	s_load_dword s10, s[2:3], 0xc
	s_waitcnt lgkmcnt(0)
	s_and_b32 s7, s10, 0xffff
.LBB66_2:
	s_or_saveexec_b64 s[8:9], s[8:9]
	s_load_dwordx2 s[20:21], s[4:5], 0xd0
	v_mov_b32_e32 v7, s10
	v_mov_b32_e32 v5, s7
	s_xor_b64 exec, exec, s[8:9]
	s_cbranch_execz .LBB66_6
; %bb.3:
	s_load_dword s7, s[2:3], 0xc
	s_mov_b32 s13, 0
	v_add_u32_e32 v4, 0, v0
	s_mov_b64 s[10:11], 0
	v_mov_b32_e32 v5, 0
	s_waitcnt lgkmcnt(0)
	s_and_b32 s12, s7, 0xffff
	v_mov_b32_e32 v6, s13
	v_pk_mov_b32 v[2:3], v[0:1], v[0:1] op_sel:[0,1]
.LBB66_4:                               ; =>This Inner Loop Header: Depth=1
	v_add_co_u32_e32 v2, vcc, s12, v2
	v_addc_co_u32_e32 v3, vcc, v3, v6, vcc
	v_cmp_le_i64_e32 vcc, s[18:19], v[2:3]
	ds_write_b8 v4, v5
	s_or_b64 s[10:11], vcc, s[10:11]
	v_add_u32_e32 v4, s12, v4
	s_andn2_b64 exec, exec, s[10:11]
	s_cbranch_execnz .LBB66_4
; %bb.5:
	s_or_b64 exec, exec, s[10:11]
	v_mov_b32_e32 v7, s7
	v_mov_b32_e32 v5, s12
.LBB66_6:
	s_or_b64 exec, exec, s[8:9]
	s_load_dwordx8 s[8:15], s[4:5], 0x4e0
	v_mad_u64_u32 v[2:3], s[6:7], s6, v5, v[0:1]
	v_mov_b32_e32 v4, 0
	v_mov_b32_e32 v3, v4
	s_waitcnt lgkmcnt(0)
	v_cmp_gt_i64_e32 vcc, s[14:15], v[2:3]
	s_barrier
	s_and_saveexec_b64 s[6:7], vcc
	s_cbranch_execz .LBB66_23
; %bb.7:
	s_load_dword s26, s[4:5], 0x4d8
	s_load_dwordx2 s[22:23], s[4:5], 0x410
	s_load_dwordx2 s[24:25], s[4:5], 0x340
	s_add_u32 s27, s4, 0x340
	s_addc_u32 s29, s5, 0
	s_waitcnt lgkmcnt(0)
	s_cmp_gt_i32 s26, 1
	s_load_dword s28, s[2:3], 0x0
	s_cselect_b64 s[2:3], -1, 0
	s_sub_u32 s33, s12, s10
	s_subb_u32 s42, s13, s11
	s_mov_b32 s5, 0
	s_add_i32 s4, s26, -1
	s_add_i32 s43, s26, 1
	s_lshl_b64 s[4:5], s[4:5], 3
	s_add_u32 s4, s4, s27
	s_addc_u32 s5, s5, s29
	s_waitcnt lgkmcnt(0)
	v_mul_lo_u32 v6, s28, v5
	s_add_u32 s26, s4, 8
	v_cndmask_b32_e64 v5, 0, 1, s[2:3]
	s_addc_u32 s27, s5, 0
	s_mov_b64 s[28:29], 0
	v_cmp_ne_u32_e64 s[2:3], 1, v5
	s_movk_i32 s44, 0xff
	s_branch .LBB66_9
.LBB66_8:                               ;   in Loop: Header=BB66_9 Depth=1
	s_or_b64 exec, exec, s[30:31]
	v_add_co_u32_e32 v2, vcc, v2, v6
	v_addc_co_u32_e32 v3, vcc, 0, v3, vcc
	v_cmp_le_i64_e32 vcc, s[14:15], v[2:3]
	s_or_b64 s[28:29], vcc, s[28:29]
	s_andn2_b64 exec, exec, s[28:29]
	s_cbranch_execz .LBB66_23
.LBB66_9:                               ; =>This Loop Header: Depth=1
                                        ;     Child Loop BB66_10 Depth 2
                                        ;     Child Loop BB66_22 Depth 2
	s_and_b64 vcc, exec, s[2:3]
	v_pk_mov_b32 v[8:9], 0, 0
	s_mov_b64 s[30:31], s[26:27]
	s_mov_b32 s45, s43
	v_pk_mov_b32 v[10:11], v[2:3], v[2:3] op_sel:[0,1]
	v_pk_mov_b32 v[12:13], v[2:3], v[2:3] op_sel:[0,1]
	s_cbranch_vccnz .LBB66_16
.LBB66_10:                              ;   Parent Loop BB66_9 Depth=1
                                        ; =>  This Inner Loop Header: Depth=2
	s_load_dwordx2 s[34:35], s[30:31], 0x0
                                        ; implicit-def: $vgpr12_vgpr13
	s_waitcnt lgkmcnt(0)
	v_or_b32_e32 v5, s35, v11
	v_cmp_ne_u64_e32 vcc, 0, v[4:5]
	s_and_saveexec_b64 s[4:5], vcc
	s_xor_b64 s[36:37], exec, s[4:5]
	s_cbranch_execz .LBB66_12
; %bb.11:                               ;   in Loop: Header=BB66_10 Depth=2
	s_ashr_i32 s38, s35, 31
	s_add_u32 s4, s34, s38
	s_mov_b32 s39, s38
	s_addc_u32 s5, s35, s38
	s_xor_b64 s[40:41], s[4:5], s[38:39]
	v_cvt_f32_u32_e32 v5, s40
	v_cvt_f32_u32_e32 v12, s41
	s_sub_u32 s4, 0, s40
	s_subb_u32 s5, 0, s41
	v_mac_f32_e32 v5, 0x4f800000, v12
	v_rcp_f32_e32 v5, v5
	v_mul_f32_e32 v5, 0x5f7ffffc, v5
	v_mul_f32_e32 v12, 0x2f800000, v5
	v_trunc_f32_e32 v12, v12
	v_mac_f32_e32 v5, 0xcf800000, v12
	v_cvt_u32_f32_e32 v12, v12
	v_cvt_u32_f32_e32 v5, v5
	v_mul_lo_u32 v13, s4, v12
	v_mul_hi_u32 v15, s4, v5
	v_mul_lo_u32 v14, s5, v5
	v_add_u32_e32 v13, v15, v13
	v_mul_lo_u32 v16, s4, v5
	v_add_u32_e32 v13, v13, v14
	v_mul_lo_u32 v15, v5, v13
	v_mul_hi_u32 v17, v5, v16
	v_mul_hi_u32 v14, v5, v13
	v_add_co_u32_e32 v15, vcc, v17, v15
	v_addc_co_u32_e32 v14, vcc, 0, v14, vcc
	v_mul_hi_u32 v18, v12, v16
	v_mul_lo_u32 v16, v12, v16
	v_add_co_u32_e32 v15, vcc, v15, v16
	v_mul_hi_u32 v17, v12, v13
	v_addc_co_u32_e32 v14, vcc, v14, v18, vcc
	v_addc_co_u32_e32 v15, vcc, 0, v17, vcc
	v_mul_lo_u32 v13, v12, v13
	v_add_co_u32_e32 v13, vcc, v14, v13
	v_addc_co_u32_e32 v14, vcc, 0, v15, vcc
	v_add_co_u32_e32 v5, vcc, v5, v13
	v_addc_co_u32_e32 v12, vcc, v12, v14, vcc
	v_mul_lo_u32 v13, s4, v12
	v_mul_hi_u32 v14, s4, v5
	v_add_u32_e32 v13, v14, v13
	v_mul_lo_u32 v14, s5, v5
	v_add_u32_e32 v13, v13, v14
	v_mul_lo_u32 v15, s4, v5
	v_mul_hi_u32 v16, v12, v15
	v_mul_lo_u32 v17, v12, v15
	v_mul_lo_u32 v19, v5, v13
	v_mul_hi_u32 v15, v5, v15
	v_mul_hi_u32 v18, v5, v13
	v_add_co_u32_e32 v15, vcc, v15, v19
	v_addc_co_u32_e32 v18, vcc, 0, v18, vcc
	v_add_co_u32_e32 v15, vcc, v15, v17
	v_mul_hi_u32 v14, v12, v13
	v_addc_co_u32_e32 v15, vcc, v18, v16, vcc
	v_addc_co_u32_e32 v14, vcc, 0, v14, vcc
	v_mul_lo_u32 v13, v12, v13
	v_add_co_u32_e32 v13, vcc, v15, v13
	v_addc_co_u32_e32 v14, vcc, 0, v14, vcc
	v_add_co_u32_e32 v5, vcc, v5, v13
	v_addc_co_u32_e32 v14, vcc, v12, v14, vcc
	v_ashrrev_i32_e32 v16, 31, v11
	v_add_co_u32_e32 v12, vcc, v10, v16
	v_addc_co_u32_e32 v13, vcc, v11, v16, vcc
	v_xor_b32_e32 v18, v12, v16
	v_xor_b32_e32 v17, v13, v16
	v_mad_u64_u32 v[12:13], s[4:5], v18, v14, 0
	v_mul_hi_u32 v15, v18, v5
	v_add_co_u32_e32 v19, vcc, v15, v12
	v_addc_co_u32_e32 v20, vcc, 0, v13, vcc
	v_mad_u64_u32 v[12:13], s[4:5], v17, v14, 0
	v_mad_u64_u32 v[14:15], s[4:5], v17, v5, 0
	v_add_co_u32_e32 v5, vcc, v19, v14
	v_addc_co_u32_e32 v5, vcc, v20, v15, vcc
	v_addc_co_u32_e32 v13, vcc, 0, v13, vcc
	v_add_co_u32_e32 v5, vcc, v5, v12
	v_addc_co_u32_e32 v14, vcc, 0, v13, vcc
	v_mul_lo_u32 v15, s41, v5
	v_mul_lo_u32 v19, s40, v14
	v_mad_u64_u32 v[12:13], s[4:5], s40, v5, 0
	v_add3_u32 v13, v13, v19, v15
	v_sub_u32_e32 v15, v17, v13
	v_mov_b32_e32 v19, s41
	v_sub_co_u32_e32 v12, vcc, v18, v12
	v_subb_co_u32_e64 v15, s[4:5], v15, v19, vcc
	v_subrev_co_u32_e64 v18, s[4:5], s40, v12
	v_subbrev_co_u32_e64 v15, s[4:5], 0, v15, s[4:5]
	v_cmp_le_u32_e64 s[4:5], s41, v15
	v_cndmask_b32_e64 v19, 0, -1, s[4:5]
	v_cmp_le_u32_e64 s[4:5], s40, v18
	v_cndmask_b32_e64 v18, 0, -1, s[4:5]
	v_cmp_eq_u32_e64 s[4:5], s41, v15
	v_cndmask_b32_e64 v15, v19, v18, s[4:5]
	v_add_co_u32_e64 v18, s[4:5], 2, v5
	v_subb_co_u32_e32 v13, vcc, v17, v13, vcc
	v_addc_co_u32_e64 v19, s[4:5], 0, v14, s[4:5]
	v_cmp_le_u32_e32 vcc, s41, v13
	v_add_co_u32_e64 v20, s[4:5], 1, v5
	v_cndmask_b32_e64 v17, 0, -1, vcc
	v_cmp_le_u32_e32 vcc, s40, v12
	v_addc_co_u32_e64 v21, s[4:5], 0, v14, s[4:5]
	v_cndmask_b32_e64 v12, 0, -1, vcc
	v_cmp_eq_u32_e32 vcc, s41, v13
	v_cmp_ne_u32_e64 s[4:5], 0, v15
	v_cndmask_b32_e32 v12, v17, v12, vcc
	v_cmp_ne_u32_e32 vcc, 0, v12
	v_cndmask_b32_e64 v13, v20, v18, s[4:5]
	v_cndmask_b32_e64 v15, v21, v19, s[4:5]
	v_cndmask_b32_e32 v5, v5, v13, vcc
	v_xor_b32_e32 v13, s38, v16
	v_cndmask_b32_e32 v12, v14, v15, vcc
	v_xor_b32_e32 v5, v5, v13
	v_xor_b32_e32 v14, v12, v13
	v_sub_co_u32_e32 v12, vcc, v5, v13
	v_subb_co_u32_e32 v13, vcc, v14, v13, vcc
.LBB66_12:                              ;   in Loop: Header=BB66_10 Depth=2
	s_andn2_saveexec_b64 s[4:5], s[36:37]
	s_cbranch_execz .LBB66_14
; %bb.13:                               ;   in Loop: Header=BB66_10 Depth=2
	v_cvt_f32_u32_e32 v5, s34
	s_sub_i32 s36, 0, s34
	v_rcp_iflag_f32_e32 v5, v5
	v_mul_f32_e32 v5, 0x4f7ffffe, v5
	v_cvt_u32_f32_e32 v5, v5
	v_mul_lo_u32 v12, s36, v5
	v_mul_hi_u32 v12, v5, v12
	v_add_u32_e32 v5, v5, v12
	v_mul_hi_u32 v5, v10, v5
	v_mul_lo_u32 v12, v5, s34
	v_sub_u32_e32 v12, v10, v12
	v_add_u32_e32 v13, 1, v5
	v_subrev_u32_e32 v14, s34, v12
	v_cmp_le_u32_e32 vcc, s34, v12
	v_cndmask_b32_e32 v12, v12, v14, vcc
	v_cndmask_b32_e32 v5, v5, v13, vcc
	v_add_u32_e32 v13, 1, v5
	v_cmp_le_u32_e32 vcc, s34, v12
	v_cndmask_b32_e32 v12, v5, v13, vcc
	v_mov_b32_e32 v13, v4
.LBB66_14:                              ;   in Loop: Header=BB66_10 Depth=2
	s_or_b64 exec, exec, s[4:5]
	v_mad_u64_u32 v[14:15], s[4:5], v12, s34, 0
	s_load_dwordx2 s[4:5], s[30:31], 0xc8
	v_mul_lo_u32 v5, v13, s34
	v_mul_lo_u32 v16, v12, s35
	v_add3_u32 v5, v15, v16, v5
	v_sub_co_u32_e32 v10, vcc, v10, v14
	s_add_i32 s45, s45, -1
	v_subb_co_u32_e32 v5, vcc, v11, v5, vcc
	s_add_u32 s30, s30, -8
	s_waitcnt lgkmcnt(0)
	v_mul_lo_u32 v5, s4, v5
	v_mul_lo_u32 v11, s5, v10
	v_mad_u64_u32 v[8:9], s[4:5], s4, v10, v[8:9]
	s_addc_u32 s31, s31, -1
	s_cmp_gt_u32 s45, 2
	v_add3_u32 v9, v11, v9, v5
	s_cbranch_scc0 .LBB66_16
; %bb.15:                               ;   in Loop: Header=BB66_10 Depth=2
	v_pk_mov_b32 v[10:11], v[12:13], v[12:13] op_sel:[0,1]
	s_branch .LBB66_10
.LBB66_16:                              ;   in Loop: Header=BB66_9 Depth=1
	v_pk_mov_b32 v[10:11], s[24:25], s[24:25] op_sel:[0,1]
	v_mad_u64_u32 v[10:11], s[4:5], s22, v12, v[10:11]
	v_mul_lo_u32 v5, s22, v13
	v_mul_lo_u32 v12, s23, v12
	v_add3_u32 v5, v12, v11, v5
	v_add_co_u32_e32 v8, vcc, v10, v8
	v_addc_co_u32_e32 v9, vcc, v5, v9, vcc
	global_load_sbyte v5, v[8:9], off
	s_waitcnt vmcnt(0)
	v_bfe_i32 v8, v5, 0, 16
	v_ashrrev_i32_e32 v9, 31, v8
	v_cmp_le_i64_e32 vcc, s[10:11], v[8:9]
	v_cmp_ge_i64_e64 s[4:5], s[12:13], v[8:9]
	s_and_b64 s[4:5], vcc, s[4:5]
	s_and_saveexec_b64 s[30:31], s[4:5]
	s_cbranch_execz .LBB66_8
; %bb.17:                               ;   in Loop: Header=BB66_9 Depth=1
	v_mov_b32_e32 v5, s11
	v_subrev_co_u32_e32 v8, vcc, s10, v8
	v_subb_co_u32_e32 v5, vcc, v9, v5, vcc
	v_mul_lo_u32 v5, v5, s8
	v_mul_lo_u32 v10, v8, s9
	v_mad_u64_u32 v[8:9], s[4:5], v8, s8, 0
	v_add3_u32 v9, v9, v10, v5
	v_or_b32_e32 v5, s42, v9
	v_cmp_ne_u64_e32 vcc, 0, v[4:5]
                                        ; implicit-def: $vgpr10_vgpr11
	s_and_saveexec_b64 s[4:5], vcc
	s_xor_b64 s[34:35], exec, s[4:5]
	s_cbranch_execz .LBB66_19
; %bb.18:                               ;   in Loop: Header=BB66_9 Depth=1
	s_ashr_i32 s36, s42, 31
	s_add_u32 s4, s33, s36
	s_mov_b32 s37, s36
	s_addc_u32 s5, s42, s36
	s_xor_b64 s[38:39], s[4:5], s[36:37]
	v_cvt_f32_u32_e32 v5, s38
	v_cvt_f32_u32_e32 v10, s39
	s_sub_u32 s4, 0, s38
	s_subb_u32 s5, 0, s39
	v_mac_f32_e32 v5, 0x4f800000, v10
	v_rcp_f32_e32 v5, v5
	v_mul_f32_e32 v5, 0x5f7ffffc, v5
	v_mul_f32_e32 v10, 0x2f800000, v5
	v_trunc_f32_e32 v10, v10
	v_mac_f32_e32 v5, 0xcf800000, v10
	v_cvt_u32_f32_e32 v10, v10
	v_cvt_u32_f32_e32 v5, v5
	v_mul_lo_u32 v11, s4, v10
	v_mul_hi_u32 v13, s4, v5
	v_mul_lo_u32 v12, s5, v5
	v_add_u32_e32 v11, v13, v11
	v_mul_lo_u32 v14, s4, v5
	v_add_u32_e32 v11, v11, v12
	v_mul_lo_u32 v13, v5, v11
	v_mul_hi_u32 v15, v5, v14
	v_mul_hi_u32 v12, v5, v11
	v_add_co_u32_e32 v13, vcc, v15, v13
	v_addc_co_u32_e32 v12, vcc, 0, v12, vcc
	v_mul_hi_u32 v16, v10, v14
	v_mul_lo_u32 v14, v10, v14
	v_add_co_u32_e32 v13, vcc, v13, v14
	v_mul_hi_u32 v15, v10, v11
	v_addc_co_u32_e32 v12, vcc, v12, v16, vcc
	v_addc_co_u32_e32 v13, vcc, 0, v15, vcc
	v_mul_lo_u32 v11, v10, v11
	v_add_co_u32_e32 v11, vcc, v12, v11
	v_addc_co_u32_e32 v12, vcc, 0, v13, vcc
	v_add_co_u32_e32 v5, vcc, v5, v11
	v_addc_co_u32_e32 v10, vcc, v10, v12, vcc
	v_mul_lo_u32 v11, s4, v10
	v_mul_hi_u32 v12, s4, v5
	v_add_u32_e32 v11, v12, v11
	v_mul_lo_u32 v12, s5, v5
	v_add_u32_e32 v11, v11, v12
	v_mul_lo_u32 v13, s4, v5
	v_mul_hi_u32 v14, v10, v13
	v_mul_lo_u32 v15, v10, v13
	v_mul_lo_u32 v17, v5, v11
	v_mul_hi_u32 v13, v5, v13
	v_mul_hi_u32 v16, v5, v11
	v_add_co_u32_e32 v13, vcc, v13, v17
	v_addc_co_u32_e32 v16, vcc, 0, v16, vcc
	v_add_co_u32_e32 v13, vcc, v13, v15
	v_mul_hi_u32 v12, v10, v11
	v_addc_co_u32_e32 v13, vcc, v16, v14, vcc
	v_addc_co_u32_e32 v12, vcc, 0, v12, vcc
	v_mul_lo_u32 v11, v10, v11
	v_add_co_u32_e32 v11, vcc, v13, v11
	v_addc_co_u32_e32 v12, vcc, 0, v12, vcc
	v_add_co_u32_e32 v5, vcc, v5, v11
	v_addc_co_u32_e32 v10, vcc, v10, v12, vcc
	v_ashrrev_i32_e32 v12, 31, v9
	v_add_co_u32_e32 v8, vcc, v8, v12
	v_addc_co_u32_e32 v9, vcc, v9, v12, vcc
	v_xor_b32_e32 v14, v8, v12
	v_xor_b32_e32 v13, v9, v12
	v_mad_u64_u32 v[8:9], s[4:5], v14, v10, 0
	v_mul_hi_u32 v11, v14, v5
	v_add_co_u32_e32 v15, vcc, v11, v8
	v_addc_co_u32_e32 v16, vcc, 0, v9, vcc
	v_mad_u64_u32 v[8:9], s[4:5], v13, v10, 0
	v_mad_u64_u32 v[10:11], s[4:5], v13, v5, 0
	v_add_co_u32_e32 v5, vcc, v15, v10
	v_addc_co_u32_e32 v5, vcc, v16, v11, vcc
	v_addc_co_u32_e32 v9, vcc, 0, v9, vcc
	v_add_co_u32_e32 v5, vcc, v5, v8
	v_addc_co_u32_e32 v8, vcc, 0, v9, vcc
	v_mul_lo_u32 v10, s39, v5
	v_mul_lo_u32 v11, s38, v8
	v_mad_u64_u32 v[8:9], s[4:5], s38, v5, 0
	v_add3_u32 v9, v9, v11, v10
	v_sub_u32_e32 v10, v13, v9
	v_mov_b32_e32 v11, s39
	v_sub_co_u32_e32 v8, vcc, v14, v8
	v_subb_co_u32_e64 v10, s[4:5], v10, v11, vcc
	v_subrev_co_u32_e64 v11, s[4:5], s38, v8
	v_subbrev_co_u32_e64 v10, s[4:5], 0, v10, s[4:5]
	v_cmp_le_u32_e64 s[4:5], s39, v10
	v_subb_co_u32_e32 v9, vcc, v13, v9, vcc
	v_cndmask_b32_e64 v14, 0, -1, s[4:5]
	v_cmp_le_u32_e64 s[4:5], s38, v11
	v_cmp_le_u32_e32 vcc, s39, v9
	v_cndmask_b32_e64 v11, 0, -1, s[4:5]
	v_cmp_eq_u32_e64 s[4:5], s39, v10
	v_cndmask_b32_e64 v13, 0, -1, vcc
	v_cmp_le_u32_e32 vcc, s38, v8
	v_cndmask_b32_e64 v10, v14, v11, s[4:5]
	v_cndmask_b32_e64 v8, 0, -1, vcc
	v_cmp_eq_u32_e32 vcc, s39, v9
	v_add_co_u32_e64 v11, s[4:5], 2, v5
	v_add_co_u32_e64 v14, s[4:5], 1, v5
	v_cndmask_b32_e32 v8, v13, v8, vcc
	v_cmp_ne_u32_e32 vcc, 0, v10
	v_cndmask_b32_e32 v9, v14, v11, vcc
	v_cmp_ne_u32_e32 vcc, 0, v8
	v_cndmask_b32_e32 v5, v5, v9, vcc
	v_xor_b32_e32 v8, s36, v12
	v_xor_b32_e32 v5, v5, v8
	v_sub_co_u32_e32 v10, vcc, v5, v8
                                        ; implicit-def: $vgpr8_vgpr9
.LBB66_19:                              ;   in Loop: Header=BB66_9 Depth=1
	s_andn2_saveexec_b64 s[4:5], s[34:35]
	s_cbranch_execz .LBB66_21
; %bb.20:                               ;   in Loop: Header=BB66_9 Depth=1
	v_cvt_f32_u32_e32 v5, s33
	s_sub_i32 s34, 0, s33
	v_rcp_iflag_f32_e32 v5, v5
	v_mul_f32_e32 v5, 0x4f7ffffe, v5
	v_cvt_u32_f32_e32 v5, v5
	v_mul_lo_u32 v9, s34, v5
	v_mul_hi_u32 v9, v5, v9
	v_add_u32_e32 v5, v5, v9
	v_mul_hi_u32 v5, v8, v5
	v_mul_lo_u32 v9, v5, s33
	v_sub_u32_e32 v8, v8, v9
	v_add_u32_e32 v10, 1, v5
	v_subrev_u32_e32 v9, s33, v8
	v_cmp_le_u32_e32 vcc, s33, v8
	v_cndmask_b32_e32 v8, v8, v9, vcc
	v_cndmask_b32_e32 v5, v5, v10, vcc
	v_add_u32_e32 v9, 1, v5
	v_cmp_le_u32_e32 vcc, s33, v8
	v_cndmask_b32_e32 v10, v5, v9, vcc
.LBB66_21:                              ;   in Loop: Header=BB66_9 Depth=1
	s_or_b64 exec, exec, s[4:5]
	v_ashrrev_i32_e32 v11, 31, v10
	v_cmp_eq_u64_e32 vcc, s[8:9], v[10:11]
	v_subbrev_co_u32_e32 v5, vcc, 0, v10, vcc
	v_add_u32_e32 v10, 0, v5
	v_and_b32_e32 v8, -4, v10
	ds_read_b32 v9, v8
	v_and_b32_e32 v5, 3, v10
	v_sub_u32_e32 v11, 0, v5
	v_lshlrev_b32_e32 v5, 3, v5
	v_lshlrev_b32_e64 v8, v5, s44
	v_not_b32_e32 v8, v8
	s_mov_b64 s[4:5], 0
	v_add_u32_e32 v10, v10, v11
.LBB66_22:                              ;   Parent Loop BB66_9 Depth=1
                                        ; =>  This Inner Loop Header: Depth=2
	s_waitcnt lgkmcnt(0)
	v_lshrrev_b32_e32 v11, v5, v9
	v_add_u32_e32 v11, 1, v11
	v_and_b32_e32 v12, v9, v8
	v_and_b32_e32 v11, 0xff, v11
	v_lshl_or_b32 v11, v11, v5, v12
	ds_cmpst_rtn_b32 v11, v10, v9, v11
	s_waitcnt lgkmcnt(0)
	v_cmp_eq_u32_e32 vcc, v9, v11
	s_or_b64 s[4:5], vcc, s[4:5]
	v_mov_b32_e32 v9, v11
	s_andn2_b64 exec, exec, s[4:5]
	s_cbranch_execnz .LBB66_22
	s_branch .LBB66_8
.LBB66_23:
	s_or_b64 exec, exec, s[6:7]
; %bb.24:
	s_barrier
	s_and_saveexec_b64 s[2:3], s[0:1]
	s_cbranch_execz .LBB66_29
; %bb.25:
	v_and_b32_e32 v2, 0xffff, v7
	s_mov_b64 s[0:1], 0
	v_pk_mov_b32 v[4:5], s[16:17], s[16:17] op_sel:[0,1]
	s_movk_i32 s4, 0xff
.LBB66_26:                              ; =>This Loop Header: Depth=1
                                        ;     Child Loop BB66_27 Depth 2
	v_mad_u64_u32 v[8:9], s[2:3], v0, s20, v[4:5]
	v_mul_lo_u32 v3, v0, s21
	v_mul_lo_u32 v6, v1, s20
	v_add3_u32 v7, v6, v9, v3
	v_and_b32_e32 v6, -4, v8
	global_load_dword v9, v[6:7], off
	v_add_u32_e32 v3, 0, v0
	ds_read_u8 v3, v3
	v_and_b32_e32 v8, 3, v8
	v_lshlrev_b32_e32 v10, 3, v8
	v_lshlrev_b32_e64 v8, v10, s4
	v_not_b32_e32 v11, v8
	s_mov_b64 s[2:3], 0
.LBB66_27:                              ;   Parent Loop BB66_26 Depth=1
                                        ; =>  This Inner Loop Header: Depth=2
	s_waitcnt vmcnt(0)
	v_lshrrev_b32_e32 v8, v10, v9
	s_waitcnt lgkmcnt(0)
	v_add_u16_e32 v8, v3, v8
	v_and_b32_e32 v12, v9, v11
	v_and_b32_e32 v8, 0xff, v8
	v_lshl_or_b32 v8, v8, v10, v12
	global_atomic_cmpswap v8, v[6:7], v[8:9], off glc
	s_waitcnt vmcnt(0)
	v_cmp_eq_u32_e32 vcc, v9, v8
	s_or_b64 s[2:3], vcc, s[2:3]
	v_mov_b32_e32 v9, v8
	s_andn2_b64 exec, exec, s[2:3]
	s_cbranch_execnz .LBB66_27
; %bb.28:                               ;   in Loop: Header=BB66_26 Depth=1
	s_or_b64 exec, exec, s[2:3]
	v_add_co_u32_e32 v0, vcc, v0, v2
	v_addc_co_u32_e32 v1, vcc, 0, v1, vcc
	v_cmp_le_i64_e32 vcc, s[18:19], v[0:1]
	s_or_b64 s[0:1], vcc, s[0:1]
	s_andn2_b64 exec, exec, s[0:1]
	s_cbranch_execnz .LBB66_26
.LBB66_29:
	s_endpgm
	.section	.rodata,"a",@progbits
	.p2align	6, 0x0
	.amdhsa_kernel _ZN2at4cuda17kernelHistogram1DIaalLi1ELi2ELin1ELNS0_23CUDAHistogramMemoryTypeE0EZNS0_21CUDA_tensor_histogramIaaLb0EEEbNS_6TensorES4_S4_lNS_14AccumulateTypeIT0_Lb1EE4typeES8_NS0_13TensorArgTypeES9_S9_EUllE0_EEvNS0_6detail10TensorInfoIT_T1_EESF_NSC_IKS6_SE_EElS8_S8_SE_T6_
		.amdhsa_group_segment_fixed_size 0
		.amdhsa_private_segment_fixed_size 0
		.amdhsa_kernarg_size 1544
		.amdhsa_user_sgpr_count 6
		.amdhsa_user_sgpr_private_segment_buffer 1
		.amdhsa_user_sgpr_dispatch_ptr 0
		.amdhsa_user_sgpr_queue_ptr 0
		.amdhsa_user_sgpr_kernarg_segment_ptr 1
		.amdhsa_user_sgpr_dispatch_id 0
		.amdhsa_user_sgpr_flat_scratch_init 0
		.amdhsa_user_sgpr_kernarg_preload_length 0
		.amdhsa_user_sgpr_kernarg_preload_offset 0
		.amdhsa_user_sgpr_private_segment_size 0
		.amdhsa_uses_dynamic_stack 0
		.amdhsa_system_sgpr_private_segment_wavefront_offset 0
		.amdhsa_system_sgpr_workgroup_id_x 1
		.amdhsa_system_sgpr_workgroup_id_y 0
		.amdhsa_system_sgpr_workgroup_id_z 0
		.amdhsa_system_sgpr_workgroup_info 0
		.amdhsa_system_vgpr_workitem_id 0
		.amdhsa_next_free_vgpr 22
		.amdhsa_next_free_sgpr 46
		.amdhsa_accum_offset 24
		.amdhsa_reserve_vcc 1
		.amdhsa_reserve_flat_scratch 0
		.amdhsa_float_round_mode_32 0
		.amdhsa_float_round_mode_16_64 0
		.amdhsa_float_denorm_mode_32 3
		.amdhsa_float_denorm_mode_16_64 3
		.amdhsa_dx10_clamp 1
		.amdhsa_ieee_mode 1
		.amdhsa_fp16_overflow 0
		.amdhsa_tg_split 0
		.amdhsa_exception_fp_ieee_invalid_op 0
		.amdhsa_exception_fp_denorm_src 0
		.amdhsa_exception_fp_ieee_div_zero 0
		.amdhsa_exception_fp_ieee_overflow 0
		.amdhsa_exception_fp_ieee_underflow 0
		.amdhsa_exception_fp_ieee_inexact 0
		.amdhsa_exception_int_div_zero 0
	.end_amdhsa_kernel
	.section	.text._ZN2at4cuda17kernelHistogram1DIaalLi1ELi2ELin1ELNS0_23CUDAHistogramMemoryTypeE0EZNS0_21CUDA_tensor_histogramIaaLb0EEEbNS_6TensorES4_S4_lNS_14AccumulateTypeIT0_Lb1EE4typeES8_NS0_13TensorArgTypeES9_S9_EUllE0_EEvNS0_6detail10TensorInfoIT_T1_EESF_NSC_IKS6_SE_EElS8_S8_SE_T6_,"axG",@progbits,_ZN2at4cuda17kernelHistogram1DIaalLi1ELi2ELin1ELNS0_23CUDAHistogramMemoryTypeE0EZNS0_21CUDA_tensor_histogramIaaLb0EEEbNS_6TensorES4_S4_lNS_14AccumulateTypeIT0_Lb1EE4typeES8_NS0_13TensorArgTypeES9_S9_EUllE0_EEvNS0_6detail10TensorInfoIT_T1_EESF_NSC_IKS6_SE_EElS8_S8_SE_T6_,comdat
.Lfunc_end66:
	.size	_ZN2at4cuda17kernelHistogram1DIaalLi1ELi2ELin1ELNS0_23CUDAHistogramMemoryTypeE0EZNS0_21CUDA_tensor_histogramIaaLb0EEEbNS_6TensorES4_S4_lNS_14AccumulateTypeIT0_Lb1EE4typeES8_NS0_13TensorArgTypeES9_S9_EUllE0_EEvNS0_6detail10TensorInfoIT_T1_EESF_NSC_IKS6_SE_EElS8_S8_SE_T6_, .Lfunc_end66-_ZN2at4cuda17kernelHistogram1DIaalLi1ELi2ELin1ELNS0_23CUDAHistogramMemoryTypeE0EZNS0_21CUDA_tensor_histogramIaaLb0EEEbNS_6TensorES4_S4_lNS_14AccumulateTypeIT0_Lb1EE4typeES8_NS0_13TensorArgTypeES9_S9_EUllE0_EEvNS0_6detail10TensorInfoIT_T1_EESF_NSC_IKS6_SE_EElS8_S8_SE_T6_
                                        ; -- End function
	.section	.AMDGPU.csdata,"",@progbits
; Kernel info:
; codeLenInByte = 2616
; NumSgprs: 50
; NumVgprs: 22
; NumAgprs: 0
; TotalNumVgprs: 22
; ScratchSize: 0
; MemoryBound: 0
; FloatMode: 240
; IeeeMode: 1
; LDSByteSize: 0 bytes/workgroup (compile time only)
; SGPRBlocks: 6
; VGPRBlocks: 2
; NumSGPRsForWavesPerEU: 50
; NumVGPRsForWavesPerEU: 22
; AccumOffset: 24
; Occupancy: 8
; WaveLimiterHint : 1
; COMPUTE_PGM_RSRC2:SCRATCH_EN: 0
; COMPUTE_PGM_RSRC2:USER_SGPR: 6
; COMPUTE_PGM_RSRC2:TRAP_HANDLER: 0
; COMPUTE_PGM_RSRC2:TGID_X_EN: 1
; COMPUTE_PGM_RSRC2:TGID_Y_EN: 0
; COMPUTE_PGM_RSRC2:TGID_Z_EN: 0
; COMPUTE_PGM_RSRC2:TIDIG_COMP_CNT: 0
; COMPUTE_PGM_RSRC3_GFX90A:ACCUM_OFFSET: 5
; COMPUTE_PGM_RSRC3_GFX90A:TG_SPLIT: 0
	.section	.text._ZN2at4cuda17kernelHistogram1DIaalLi1ELi2ELin1ELNS0_23CUDAHistogramMemoryTypeE1EZNS0_21CUDA_tensor_histogramIaaLb0EEEbNS_6TensorES4_S4_lNS_14AccumulateTypeIT0_Lb1EE4typeES8_NS0_13TensorArgTypeES9_S9_EUllE0_EEvNS0_6detail10TensorInfoIT_T1_EESF_NSC_IKS6_SE_EElS8_S8_SE_T6_,"axG",@progbits,_ZN2at4cuda17kernelHistogram1DIaalLi1ELi2ELin1ELNS0_23CUDAHistogramMemoryTypeE1EZNS0_21CUDA_tensor_histogramIaaLb0EEEbNS_6TensorES4_S4_lNS_14AccumulateTypeIT0_Lb1EE4typeES8_NS0_13TensorArgTypeES9_S9_EUllE0_EEvNS0_6detail10TensorInfoIT_T1_EESF_NSC_IKS6_SE_EElS8_S8_SE_T6_,comdat
	.protected	_ZN2at4cuda17kernelHistogram1DIaalLi1ELi2ELin1ELNS0_23CUDAHistogramMemoryTypeE1EZNS0_21CUDA_tensor_histogramIaaLb0EEEbNS_6TensorES4_S4_lNS_14AccumulateTypeIT0_Lb1EE4typeES8_NS0_13TensorArgTypeES9_S9_EUllE0_EEvNS0_6detail10TensorInfoIT_T1_EESF_NSC_IKS6_SE_EElS8_S8_SE_T6_ ; -- Begin function _ZN2at4cuda17kernelHistogram1DIaalLi1ELi2ELin1ELNS0_23CUDAHistogramMemoryTypeE1EZNS0_21CUDA_tensor_histogramIaaLb0EEEbNS_6TensorES4_S4_lNS_14AccumulateTypeIT0_Lb1EE4typeES8_NS0_13TensorArgTypeES9_S9_EUllE0_EEvNS0_6detail10TensorInfoIT_T1_EESF_NSC_IKS6_SE_EElS8_S8_SE_T6_
	.globl	_ZN2at4cuda17kernelHistogram1DIaalLi1ELi2ELin1ELNS0_23CUDAHistogramMemoryTypeE1EZNS0_21CUDA_tensor_histogramIaaLb0EEEbNS_6TensorES4_S4_lNS_14AccumulateTypeIT0_Lb1EE4typeES8_NS0_13TensorArgTypeES9_S9_EUllE0_EEvNS0_6detail10TensorInfoIT_T1_EESF_NSC_IKS6_SE_EElS8_S8_SE_T6_
	.p2align	8
	.type	_ZN2at4cuda17kernelHistogram1DIaalLi1ELi2ELin1ELNS0_23CUDAHistogramMemoryTypeE1EZNS0_21CUDA_tensor_histogramIaaLb0EEEbNS_6TensorES4_S4_lNS_14AccumulateTypeIT0_Lb1EE4typeES8_NS0_13TensorArgTypeES9_S9_EUllE0_EEvNS0_6detail10TensorInfoIT_T1_EESF_NSC_IKS6_SE_EElS8_S8_SE_T6_,@function
_ZN2at4cuda17kernelHistogram1DIaalLi1ELi2ELin1ELNS0_23CUDAHistogramMemoryTypeE1EZNS0_21CUDA_tensor_histogramIaaLb0EEEbNS_6TensorES4_S4_lNS_14AccumulateTypeIT0_Lb1EE4typeES8_NS0_13TensorArgTypeES9_S9_EUllE0_EEvNS0_6detail10TensorInfoIT_T1_EESF_NSC_IKS6_SE_EElS8_S8_SE_T6_: ; @_ZN2at4cuda17kernelHistogram1DIaalLi1ELi2ELin1ELNS0_23CUDAHistogramMemoryTypeE1EZNS0_21CUDA_tensor_histogramIaaLb0EEEbNS_6TensorES4_S4_lNS_14AccumulateTypeIT0_Lb1EE4typeES8_NS0_13TensorArgTypeES9_S9_EUllE0_EEvNS0_6detail10TensorInfoIT_T1_EESF_NSC_IKS6_SE_EElS8_S8_SE_T6_
; %bb.0:
	s_load_dword s2, s[4:5], 0x514
	s_load_dwordx8 s[8:15], s[4:5], 0x4e0
	s_add_u32 s0, s4, 0x508
	s_addc_u32 s1, s5, 0
	v_mov_b32_e32 v2, 0
	s_waitcnt lgkmcnt(0)
	s_and_b32 s2, s2, 0xffff
	s_mul_i32 s6, s6, s2
	v_add_u32_e32 v0, s6, v0
	v_mov_b32_e32 v1, v2
	v_cmp_gt_i64_e32 vcc, s[14:15], v[0:1]
	s_and_saveexec_b64 s[6:7], vcc
	s_cbranch_execz .LBB67_17
; %bb.1:
	s_load_dword s3, s[4:5], 0x4d8
	s_load_dwordx2 s[6:7], s[4:5], 0x0
	s_load_dwordx2 s[16:17], s[4:5], 0xd0
	s_load_dword s24, s[0:1], 0x0
	s_add_u32 s22, s4, 0x340
	s_addc_u32 s23, s5, 0
	s_mov_b32 s38, 0
	s_waitcnt lgkmcnt(0)
	s_cmp_gt_i32 s3, 1
	s_cselect_b64 s[0:1], -1, 0
	s_sub_u32 s33, s12, s10
	s_subb_u32 s36, s13, s11
	s_mul_i32 s37, s24, s2
	s_add_i32 s39, s3, 1
	s_add_i32 s2, s3, -1
	s_mov_b32 s3, s38
	s_load_dwordx2 s[18:19], s[4:5], 0x410
	s_load_dwordx2 s[20:21], s[4:5], 0x340
	s_lshl_b64 s[2:3], s[2:3], 3
	s_add_u32 s2, s2, s22
	s_addc_u32 s3, s3, s23
	s_add_u32 s4, s2, 8
	v_cndmask_b32_e64 v3, 0, 1, s[0:1]
	s_addc_u32 s5, s3, 0
	s_mov_b64 s[22:23], 0
	v_cmp_ne_u32_e64 s[0:1], 1, v3
	s_movk_i32 s40, 0xff
	s_branch .LBB67_3
.LBB67_2:                               ;   in Loop: Header=BB67_3 Depth=1
	s_or_b64 exec, exec, s[24:25]
	v_mov_b32_e32 v3, s38
	v_add_co_u32_e32 v0, vcc, s37, v0
	v_addc_co_u32_e32 v1, vcc, v1, v3, vcc
	v_cmp_le_i64_e32 vcc, s[14:15], v[0:1]
	s_or_b64 s[22:23], vcc, s[22:23]
	s_andn2_b64 exec, exec, s[22:23]
	s_cbranch_execz .LBB67_17
.LBB67_3:                               ; =>This Loop Header: Depth=1
                                        ;     Child Loop BB67_4 Depth 2
                                        ;     Child Loop BB67_16 Depth 2
	s_and_b64 vcc, exec, s[0:1]
	v_pk_mov_b32 v[4:5], 0, 0
	s_mov_b64 s[24:25], s[4:5]
	s_mov_b32 s41, s39
	v_pk_mov_b32 v[6:7], v[0:1], v[0:1] op_sel:[0,1]
	v_pk_mov_b32 v[8:9], v[0:1], v[0:1] op_sel:[0,1]
	s_cbranch_vccnz .LBB67_10
.LBB67_4:                               ;   Parent Loop BB67_3 Depth=1
                                        ; =>  This Inner Loop Header: Depth=2
	s_load_dwordx2 s[26:27], s[24:25], 0x0
                                        ; implicit-def: $vgpr8_vgpr9
	s_waitcnt lgkmcnt(0)
	v_or_b32_e32 v3, s27, v7
	v_cmp_ne_u64_e32 vcc, 0, v[2:3]
	s_and_saveexec_b64 s[2:3], vcc
	s_xor_b64 s[28:29], exec, s[2:3]
	s_cbranch_execz .LBB67_6
; %bb.5:                                ;   in Loop: Header=BB67_4 Depth=2
	s_ashr_i32 s30, s27, 31
	s_add_u32 s2, s26, s30
	s_mov_b32 s31, s30
	s_addc_u32 s3, s27, s30
	s_xor_b64 s[34:35], s[2:3], s[30:31]
	v_cvt_f32_u32_e32 v3, s34
	v_cvt_f32_u32_e32 v8, s35
	s_sub_u32 s2, 0, s34
	s_subb_u32 s3, 0, s35
	v_mac_f32_e32 v3, 0x4f800000, v8
	v_rcp_f32_e32 v3, v3
	v_mul_f32_e32 v3, 0x5f7ffffc, v3
	v_mul_f32_e32 v8, 0x2f800000, v3
	v_trunc_f32_e32 v8, v8
	v_mac_f32_e32 v3, 0xcf800000, v8
	v_cvt_u32_f32_e32 v8, v8
	v_cvt_u32_f32_e32 v3, v3
	v_mul_lo_u32 v9, s2, v8
	v_mul_hi_u32 v11, s2, v3
	v_mul_lo_u32 v10, s3, v3
	v_add_u32_e32 v9, v11, v9
	v_mul_lo_u32 v12, s2, v3
	v_add_u32_e32 v9, v9, v10
	v_mul_lo_u32 v11, v3, v9
	v_mul_hi_u32 v13, v3, v12
	v_mul_hi_u32 v10, v3, v9
	v_add_co_u32_e32 v11, vcc, v13, v11
	v_addc_co_u32_e32 v10, vcc, 0, v10, vcc
	v_mul_hi_u32 v14, v8, v12
	v_mul_lo_u32 v12, v8, v12
	v_add_co_u32_e32 v11, vcc, v11, v12
	v_mul_hi_u32 v13, v8, v9
	v_addc_co_u32_e32 v10, vcc, v10, v14, vcc
	v_addc_co_u32_e32 v11, vcc, 0, v13, vcc
	v_mul_lo_u32 v9, v8, v9
	v_add_co_u32_e32 v9, vcc, v10, v9
	v_addc_co_u32_e32 v10, vcc, 0, v11, vcc
	v_add_co_u32_e32 v3, vcc, v3, v9
	v_addc_co_u32_e32 v8, vcc, v8, v10, vcc
	v_mul_lo_u32 v9, s2, v8
	v_mul_hi_u32 v10, s2, v3
	v_add_u32_e32 v9, v10, v9
	v_mul_lo_u32 v10, s3, v3
	v_add_u32_e32 v9, v9, v10
	v_mul_lo_u32 v11, s2, v3
	v_mul_hi_u32 v12, v8, v11
	v_mul_lo_u32 v13, v8, v11
	v_mul_lo_u32 v15, v3, v9
	v_mul_hi_u32 v11, v3, v11
	v_mul_hi_u32 v14, v3, v9
	v_add_co_u32_e32 v11, vcc, v11, v15
	v_addc_co_u32_e32 v14, vcc, 0, v14, vcc
	v_add_co_u32_e32 v11, vcc, v11, v13
	v_mul_hi_u32 v10, v8, v9
	v_addc_co_u32_e32 v11, vcc, v14, v12, vcc
	v_addc_co_u32_e32 v10, vcc, 0, v10, vcc
	v_mul_lo_u32 v9, v8, v9
	v_add_co_u32_e32 v9, vcc, v11, v9
	v_addc_co_u32_e32 v10, vcc, 0, v10, vcc
	v_add_co_u32_e32 v3, vcc, v3, v9
	v_addc_co_u32_e32 v10, vcc, v8, v10, vcc
	v_ashrrev_i32_e32 v12, 31, v7
	v_add_co_u32_e32 v8, vcc, v6, v12
	v_addc_co_u32_e32 v9, vcc, v7, v12, vcc
	v_xor_b32_e32 v14, v8, v12
	v_xor_b32_e32 v13, v9, v12
	v_mad_u64_u32 v[8:9], s[2:3], v14, v10, 0
	v_mul_hi_u32 v11, v14, v3
	v_add_co_u32_e32 v15, vcc, v11, v8
	v_addc_co_u32_e32 v16, vcc, 0, v9, vcc
	v_mad_u64_u32 v[8:9], s[2:3], v13, v10, 0
	v_mad_u64_u32 v[10:11], s[2:3], v13, v3, 0
	v_add_co_u32_e32 v3, vcc, v15, v10
	v_addc_co_u32_e32 v3, vcc, v16, v11, vcc
	v_addc_co_u32_e32 v9, vcc, 0, v9, vcc
	v_add_co_u32_e32 v3, vcc, v3, v8
	v_addc_co_u32_e32 v10, vcc, 0, v9, vcc
	v_mul_lo_u32 v11, s35, v3
	v_mul_lo_u32 v15, s34, v10
	v_mad_u64_u32 v[8:9], s[2:3], s34, v3, 0
	v_add3_u32 v9, v9, v15, v11
	v_sub_u32_e32 v11, v13, v9
	v_mov_b32_e32 v15, s35
	v_sub_co_u32_e32 v8, vcc, v14, v8
	v_subb_co_u32_e64 v11, s[2:3], v11, v15, vcc
	v_subrev_co_u32_e64 v14, s[2:3], s34, v8
	v_subbrev_co_u32_e64 v11, s[2:3], 0, v11, s[2:3]
	v_cmp_le_u32_e64 s[2:3], s35, v11
	v_cndmask_b32_e64 v15, 0, -1, s[2:3]
	v_cmp_le_u32_e64 s[2:3], s34, v14
	v_cndmask_b32_e64 v14, 0, -1, s[2:3]
	v_cmp_eq_u32_e64 s[2:3], s35, v11
	v_cndmask_b32_e64 v11, v15, v14, s[2:3]
	v_add_co_u32_e64 v14, s[2:3], 2, v3
	v_subb_co_u32_e32 v9, vcc, v13, v9, vcc
	v_addc_co_u32_e64 v15, s[2:3], 0, v10, s[2:3]
	v_cmp_le_u32_e32 vcc, s35, v9
	v_add_co_u32_e64 v16, s[2:3], 1, v3
	v_cndmask_b32_e64 v13, 0, -1, vcc
	v_cmp_le_u32_e32 vcc, s34, v8
	v_addc_co_u32_e64 v17, s[2:3], 0, v10, s[2:3]
	v_cndmask_b32_e64 v8, 0, -1, vcc
	v_cmp_eq_u32_e32 vcc, s35, v9
	v_cmp_ne_u32_e64 s[2:3], 0, v11
	v_cndmask_b32_e32 v8, v13, v8, vcc
	v_cmp_ne_u32_e32 vcc, 0, v8
	v_cndmask_b32_e64 v9, v16, v14, s[2:3]
	v_cndmask_b32_e64 v11, v17, v15, s[2:3]
	v_cndmask_b32_e32 v3, v3, v9, vcc
	v_xor_b32_e32 v9, s30, v12
	v_cndmask_b32_e32 v8, v10, v11, vcc
	v_xor_b32_e32 v3, v3, v9
	v_xor_b32_e32 v10, v8, v9
	v_sub_co_u32_e32 v8, vcc, v3, v9
	v_subb_co_u32_e32 v9, vcc, v10, v9, vcc
.LBB67_6:                               ;   in Loop: Header=BB67_4 Depth=2
	s_andn2_saveexec_b64 s[2:3], s[28:29]
	s_cbranch_execz .LBB67_8
; %bb.7:                                ;   in Loop: Header=BB67_4 Depth=2
	v_cvt_f32_u32_e32 v3, s26
	s_sub_i32 s28, 0, s26
	v_rcp_iflag_f32_e32 v3, v3
	v_mul_f32_e32 v3, 0x4f7ffffe, v3
	v_cvt_u32_f32_e32 v3, v3
	v_mul_lo_u32 v8, s28, v3
	v_mul_hi_u32 v8, v3, v8
	v_add_u32_e32 v3, v3, v8
	v_mul_hi_u32 v3, v6, v3
	v_mul_lo_u32 v8, v3, s26
	v_sub_u32_e32 v8, v6, v8
	v_add_u32_e32 v9, 1, v3
	v_subrev_u32_e32 v10, s26, v8
	v_cmp_le_u32_e32 vcc, s26, v8
	v_cndmask_b32_e32 v8, v8, v10, vcc
	v_cndmask_b32_e32 v3, v3, v9, vcc
	v_add_u32_e32 v9, 1, v3
	v_cmp_le_u32_e32 vcc, s26, v8
	v_cndmask_b32_e32 v8, v3, v9, vcc
	v_mov_b32_e32 v9, v2
.LBB67_8:                               ;   in Loop: Header=BB67_4 Depth=2
	s_or_b64 exec, exec, s[2:3]
	v_mad_u64_u32 v[10:11], s[2:3], v8, s26, 0
	s_load_dwordx2 s[2:3], s[24:25], 0xc8
	v_mul_lo_u32 v3, v9, s26
	v_mul_lo_u32 v12, v8, s27
	v_add3_u32 v3, v11, v12, v3
	v_sub_co_u32_e32 v6, vcc, v6, v10
	s_add_i32 s41, s41, -1
	v_subb_co_u32_e32 v3, vcc, v7, v3, vcc
	s_add_u32 s24, s24, -8
	s_waitcnt lgkmcnt(0)
	v_mul_lo_u32 v3, s2, v3
	v_mul_lo_u32 v7, s3, v6
	v_mad_u64_u32 v[4:5], s[2:3], s2, v6, v[4:5]
	s_addc_u32 s25, s25, -1
	s_cmp_gt_u32 s41, 2
	v_add3_u32 v5, v7, v5, v3
	s_cbranch_scc0 .LBB67_10
; %bb.9:                                ;   in Loop: Header=BB67_4 Depth=2
	v_pk_mov_b32 v[6:7], v[8:9], v[8:9] op_sel:[0,1]
	s_branch .LBB67_4
.LBB67_10:                              ;   in Loop: Header=BB67_3 Depth=1
	s_waitcnt lgkmcnt(0)
	v_pk_mov_b32 v[6:7], s[20:21], s[20:21] op_sel:[0,1]
	v_mad_u64_u32 v[6:7], s[2:3], s18, v8, v[6:7]
	v_mul_lo_u32 v3, s18, v9
	v_mul_lo_u32 v8, s19, v8
	v_add3_u32 v3, v8, v7, v3
	v_add_co_u32_e32 v4, vcc, v6, v4
	v_addc_co_u32_e32 v5, vcc, v3, v5, vcc
	global_load_sbyte v3, v[4:5], off
	s_waitcnt vmcnt(0)
	v_bfe_i32 v4, v3, 0, 16
	v_ashrrev_i32_e32 v5, 31, v4
	v_cmp_le_i64_e32 vcc, s[10:11], v[4:5]
	v_cmp_ge_i64_e64 s[2:3], s[12:13], v[4:5]
	s_and_b64 s[2:3], vcc, s[2:3]
	s_and_saveexec_b64 s[24:25], s[2:3]
	s_cbranch_execz .LBB67_2
; %bb.11:                               ;   in Loop: Header=BB67_3 Depth=1
	v_mov_b32_e32 v3, s11
	v_subrev_co_u32_e32 v4, vcc, s10, v4
	v_subb_co_u32_e32 v3, vcc, v5, v3, vcc
	v_mul_lo_u32 v3, v3, s8
	v_mul_lo_u32 v6, v4, s9
	v_mad_u64_u32 v[4:5], s[2:3], v4, s8, 0
	v_add3_u32 v5, v5, v6, v3
	v_or_b32_e32 v3, s36, v5
	v_cmp_ne_u64_e32 vcc, 0, v[2:3]
                                        ; implicit-def: $vgpr6_vgpr7
	s_and_saveexec_b64 s[2:3], vcc
	s_xor_b64 s[26:27], exec, s[2:3]
	s_cbranch_execz .LBB67_13
; %bb.12:                               ;   in Loop: Header=BB67_3 Depth=1
	s_ashr_i32 s28, s36, 31
	s_add_u32 s2, s33, s28
	s_mov_b32 s29, s28
	s_addc_u32 s3, s36, s28
	s_xor_b64 s[30:31], s[2:3], s[28:29]
	v_cvt_f32_u32_e32 v3, s30
	v_cvt_f32_u32_e32 v6, s31
	s_sub_u32 s2, 0, s30
	s_subb_u32 s3, 0, s31
	v_mac_f32_e32 v3, 0x4f800000, v6
	v_rcp_f32_e32 v3, v3
	v_mul_f32_e32 v3, 0x5f7ffffc, v3
	v_mul_f32_e32 v6, 0x2f800000, v3
	v_trunc_f32_e32 v6, v6
	v_mac_f32_e32 v3, 0xcf800000, v6
	v_cvt_u32_f32_e32 v6, v6
	v_cvt_u32_f32_e32 v3, v3
	v_mul_lo_u32 v7, s2, v6
	v_mul_hi_u32 v9, s2, v3
	v_mul_lo_u32 v8, s3, v3
	v_add_u32_e32 v7, v9, v7
	v_mul_lo_u32 v10, s2, v3
	v_add_u32_e32 v7, v7, v8
	v_mul_lo_u32 v9, v3, v7
	v_mul_hi_u32 v11, v3, v10
	v_mul_hi_u32 v8, v3, v7
	v_add_co_u32_e32 v9, vcc, v11, v9
	v_addc_co_u32_e32 v8, vcc, 0, v8, vcc
	v_mul_hi_u32 v12, v6, v10
	v_mul_lo_u32 v10, v6, v10
	v_add_co_u32_e32 v9, vcc, v9, v10
	v_mul_hi_u32 v11, v6, v7
	v_addc_co_u32_e32 v8, vcc, v8, v12, vcc
	v_addc_co_u32_e32 v9, vcc, 0, v11, vcc
	v_mul_lo_u32 v7, v6, v7
	v_add_co_u32_e32 v7, vcc, v8, v7
	v_addc_co_u32_e32 v8, vcc, 0, v9, vcc
	v_add_co_u32_e32 v3, vcc, v3, v7
	v_addc_co_u32_e32 v6, vcc, v6, v8, vcc
	v_mul_lo_u32 v7, s2, v6
	v_mul_hi_u32 v8, s2, v3
	v_add_u32_e32 v7, v8, v7
	v_mul_lo_u32 v8, s3, v3
	v_add_u32_e32 v7, v7, v8
	v_mul_lo_u32 v9, s2, v3
	v_mul_hi_u32 v10, v6, v9
	v_mul_lo_u32 v11, v6, v9
	v_mul_lo_u32 v13, v3, v7
	v_mul_hi_u32 v9, v3, v9
	v_mul_hi_u32 v12, v3, v7
	v_add_co_u32_e32 v9, vcc, v9, v13
	v_addc_co_u32_e32 v12, vcc, 0, v12, vcc
	v_add_co_u32_e32 v9, vcc, v9, v11
	v_mul_hi_u32 v8, v6, v7
	v_addc_co_u32_e32 v9, vcc, v12, v10, vcc
	v_addc_co_u32_e32 v8, vcc, 0, v8, vcc
	v_mul_lo_u32 v7, v6, v7
	v_add_co_u32_e32 v7, vcc, v9, v7
	v_addc_co_u32_e32 v8, vcc, 0, v8, vcc
	v_add_co_u32_e32 v3, vcc, v3, v7
	v_addc_co_u32_e32 v6, vcc, v6, v8, vcc
	v_ashrrev_i32_e32 v8, 31, v5
	v_add_co_u32_e32 v4, vcc, v4, v8
	v_addc_co_u32_e32 v5, vcc, v5, v8, vcc
	v_xor_b32_e32 v10, v4, v8
	v_xor_b32_e32 v9, v5, v8
	v_mad_u64_u32 v[4:5], s[2:3], v10, v6, 0
	v_mul_hi_u32 v7, v10, v3
	v_add_co_u32_e32 v11, vcc, v7, v4
	v_addc_co_u32_e32 v12, vcc, 0, v5, vcc
	v_mad_u64_u32 v[4:5], s[2:3], v9, v6, 0
	v_mad_u64_u32 v[6:7], s[2:3], v9, v3, 0
	v_add_co_u32_e32 v3, vcc, v11, v6
	v_addc_co_u32_e32 v3, vcc, v12, v7, vcc
	v_addc_co_u32_e32 v5, vcc, 0, v5, vcc
	v_add_co_u32_e32 v3, vcc, v3, v4
	v_addc_co_u32_e32 v4, vcc, 0, v5, vcc
	v_mul_lo_u32 v6, s31, v3
	v_mul_lo_u32 v7, s30, v4
	v_mad_u64_u32 v[4:5], s[2:3], s30, v3, 0
	v_add3_u32 v5, v5, v7, v6
	v_sub_u32_e32 v6, v9, v5
	v_mov_b32_e32 v7, s31
	v_sub_co_u32_e32 v4, vcc, v10, v4
	v_subb_co_u32_e64 v6, s[2:3], v6, v7, vcc
	v_subrev_co_u32_e64 v7, s[2:3], s30, v4
	v_subbrev_co_u32_e64 v6, s[2:3], 0, v6, s[2:3]
	v_cmp_le_u32_e64 s[2:3], s31, v6
	v_subb_co_u32_e32 v5, vcc, v9, v5, vcc
	v_cndmask_b32_e64 v10, 0, -1, s[2:3]
	v_cmp_le_u32_e64 s[2:3], s30, v7
	v_cmp_le_u32_e32 vcc, s31, v5
	v_cndmask_b32_e64 v7, 0, -1, s[2:3]
	v_cmp_eq_u32_e64 s[2:3], s31, v6
	v_cndmask_b32_e64 v9, 0, -1, vcc
	v_cmp_le_u32_e32 vcc, s30, v4
	v_cndmask_b32_e64 v6, v10, v7, s[2:3]
	v_cndmask_b32_e64 v4, 0, -1, vcc
	v_cmp_eq_u32_e32 vcc, s31, v5
	v_add_co_u32_e64 v7, s[2:3], 2, v3
	v_add_co_u32_e64 v10, s[2:3], 1, v3
	v_cndmask_b32_e32 v4, v9, v4, vcc
	v_cmp_ne_u32_e32 vcc, 0, v6
	v_cndmask_b32_e32 v5, v10, v7, vcc
	v_cmp_ne_u32_e32 vcc, 0, v4
	v_cndmask_b32_e32 v3, v3, v5, vcc
	v_xor_b32_e32 v4, s28, v8
	v_xor_b32_e32 v3, v3, v4
	v_sub_co_u32_e32 v6, vcc, v3, v4
                                        ; implicit-def: $vgpr4_vgpr5
.LBB67_13:                              ;   in Loop: Header=BB67_3 Depth=1
	s_andn2_saveexec_b64 s[2:3], s[26:27]
	s_cbranch_execz .LBB67_15
; %bb.14:                               ;   in Loop: Header=BB67_3 Depth=1
	v_cvt_f32_u32_e32 v3, s33
	s_sub_i32 s26, 0, s33
	v_rcp_iflag_f32_e32 v3, v3
	v_mul_f32_e32 v3, 0x4f7ffffe, v3
	v_cvt_u32_f32_e32 v3, v3
	v_mul_lo_u32 v5, s26, v3
	v_mul_hi_u32 v5, v3, v5
	v_add_u32_e32 v3, v3, v5
	v_mul_hi_u32 v3, v4, v3
	v_mul_lo_u32 v5, v3, s33
	v_sub_u32_e32 v4, v4, v5
	v_add_u32_e32 v6, 1, v3
	v_subrev_u32_e32 v5, s33, v4
	v_cmp_le_u32_e32 vcc, s33, v4
	v_cndmask_b32_e32 v4, v4, v5, vcc
	v_cndmask_b32_e32 v3, v3, v6, vcc
	v_add_u32_e32 v5, 1, v3
	v_cmp_le_u32_e32 vcc, s33, v4
	v_cndmask_b32_e32 v6, v3, v5, vcc
.LBB67_15:                              ;   in Loop: Header=BB67_3 Depth=1
	s_or_b64 exec, exec, s[2:3]
	v_ashrrev_i32_e32 v7, 31, v6
	v_cmp_eq_u64_e32 vcc, s[8:9], v[6:7]
	v_cndmask_b32_e64 v3, 0, 1, vcc
	v_sub_co_u32_e32 v3, vcc, v6, v3
	v_subbrev_co_u32_e32 v4, vcc, 0, v7, vcc
	v_mul_lo_u32 v9, v4, s16
	v_pk_mov_b32 v[4:5], s[6:7], s[6:7] op_sel:[0,1]
	v_mul_lo_u32 v8, v3, s17
	v_mad_u64_u32 v[6:7], s[2:3], v3, s16, v[4:5]
	v_add3_u32 v5, v9, v7, v8
	v_and_b32_e32 v4, -4, v6
	global_load_dword v7, v[4:5], off
	v_and_b32_e32 v3, 3, v6
	v_lshlrev_b32_e32 v3, 3, v3
	v_lshlrev_b32_e64 v6, v3, s40
	v_not_b32_e32 v8, v6
	s_mov_b64 s[2:3], 0
.LBB67_16:                              ;   Parent Loop BB67_3 Depth=1
                                        ; =>  This Inner Loop Header: Depth=2
	s_waitcnt vmcnt(0)
	v_lshrrev_b32_e32 v6, v3, v7
	v_add_u32_e32 v6, 1, v6
	v_and_b32_e32 v9, v7, v8
	v_and_b32_e32 v6, 0xff, v6
	v_lshl_or_b32 v6, v6, v3, v9
	global_atomic_cmpswap v6, v[4:5], v[6:7], off glc
	s_waitcnt vmcnt(0)
	v_cmp_eq_u32_e32 vcc, v7, v6
	s_or_b64 s[2:3], vcc, s[2:3]
	v_mov_b32_e32 v7, v6
	s_andn2_b64 exec, exec, s[2:3]
	s_cbranch_execnz .LBB67_16
	s_branch .LBB67_2
.LBB67_17:
	s_endpgm
	.section	.rodata,"a",@progbits
	.p2align	6, 0x0
	.amdhsa_kernel _ZN2at4cuda17kernelHistogram1DIaalLi1ELi2ELin1ELNS0_23CUDAHistogramMemoryTypeE1EZNS0_21CUDA_tensor_histogramIaaLb0EEEbNS_6TensorES4_S4_lNS_14AccumulateTypeIT0_Lb1EE4typeES8_NS0_13TensorArgTypeES9_S9_EUllE0_EEvNS0_6detail10TensorInfoIT_T1_EESF_NSC_IKS6_SE_EElS8_S8_SE_T6_
		.amdhsa_group_segment_fixed_size 0
		.amdhsa_private_segment_fixed_size 0
		.amdhsa_kernarg_size 1544
		.amdhsa_user_sgpr_count 6
		.amdhsa_user_sgpr_private_segment_buffer 1
		.amdhsa_user_sgpr_dispatch_ptr 0
		.amdhsa_user_sgpr_queue_ptr 0
		.amdhsa_user_sgpr_kernarg_segment_ptr 1
		.amdhsa_user_sgpr_dispatch_id 0
		.amdhsa_user_sgpr_flat_scratch_init 0
		.amdhsa_user_sgpr_kernarg_preload_length 0
		.amdhsa_user_sgpr_kernarg_preload_offset 0
		.amdhsa_user_sgpr_private_segment_size 0
		.amdhsa_uses_dynamic_stack 0
		.amdhsa_system_sgpr_private_segment_wavefront_offset 0
		.amdhsa_system_sgpr_workgroup_id_x 1
		.amdhsa_system_sgpr_workgroup_id_y 0
		.amdhsa_system_sgpr_workgroup_id_z 0
		.amdhsa_system_sgpr_workgroup_info 0
		.amdhsa_system_vgpr_workitem_id 0
		.amdhsa_next_free_vgpr 18
		.amdhsa_next_free_sgpr 42
		.amdhsa_accum_offset 20
		.amdhsa_reserve_vcc 1
		.amdhsa_reserve_flat_scratch 0
		.amdhsa_float_round_mode_32 0
		.amdhsa_float_round_mode_16_64 0
		.amdhsa_float_denorm_mode_32 3
		.amdhsa_float_denorm_mode_16_64 3
		.amdhsa_dx10_clamp 1
		.amdhsa_ieee_mode 1
		.amdhsa_fp16_overflow 0
		.amdhsa_tg_split 0
		.amdhsa_exception_fp_ieee_invalid_op 0
		.amdhsa_exception_fp_denorm_src 0
		.amdhsa_exception_fp_ieee_div_zero 0
		.amdhsa_exception_fp_ieee_overflow 0
		.amdhsa_exception_fp_ieee_underflow 0
		.amdhsa_exception_fp_ieee_inexact 0
		.amdhsa_exception_int_div_zero 0
	.end_amdhsa_kernel
	.section	.text._ZN2at4cuda17kernelHistogram1DIaalLi1ELi2ELin1ELNS0_23CUDAHistogramMemoryTypeE1EZNS0_21CUDA_tensor_histogramIaaLb0EEEbNS_6TensorES4_S4_lNS_14AccumulateTypeIT0_Lb1EE4typeES8_NS0_13TensorArgTypeES9_S9_EUllE0_EEvNS0_6detail10TensorInfoIT_T1_EESF_NSC_IKS6_SE_EElS8_S8_SE_T6_,"axG",@progbits,_ZN2at4cuda17kernelHistogram1DIaalLi1ELi2ELin1ELNS0_23CUDAHistogramMemoryTypeE1EZNS0_21CUDA_tensor_histogramIaaLb0EEEbNS_6TensorES4_S4_lNS_14AccumulateTypeIT0_Lb1EE4typeES8_NS0_13TensorArgTypeES9_S9_EUllE0_EEvNS0_6detail10TensorInfoIT_T1_EESF_NSC_IKS6_SE_EElS8_S8_SE_T6_,comdat
.Lfunc_end67:
	.size	_ZN2at4cuda17kernelHistogram1DIaalLi1ELi2ELin1ELNS0_23CUDAHistogramMemoryTypeE1EZNS0_21CUDA_tensor_histogramIaaLb0EEEbNS_6TensorES4_S4_lNS_14AccumulateTypeIT0_Lb1EE4typeES8_NS0_13TensorArgTypeES9_S9_EUllE0_EEvNS0_6detail10TensorInfoIT_T1_EESF_NSC_IKS6_SE_EElS8_S8_SE_T6_, .Lfunc_end67-_ZN2at4cuda17kernelHistogram1DIaalLi1ELi2ELin1ELNS0_23CUDAHistogramMemoryTypeE1EZNS0_21CUDA_tensor_histogramIaaLb0EEEbNS_6TensorES4_S4_lNS_14AccumulateTypeIT0_Lb1EE4typeES8_NS0_13TensorArgTypeES9_S9_EUllE0_EEvNS0_6detail10TensorInfoIT_T1_EESF_NSC_IKS6_SE_EElS8_S8_SE_T6_
                                        ; -- End function
	.section	.AMDGPU.csdata,"",@progbits
; Kernel info:
; codeLenInByte = 2284
; NumSgprs: 46
; NumVgprs: 18
; NumAgprs: 0
; TotalNumVgprs: 18
; ScratchSize: 0
; MemoryBound: 0
; FloatMode: 240
; IeeeMode: 1
; LDSByteSize: 0 bytes/workgroup (compile time only)
; SGPRBlocks: 5
; VGPRBlocks: 2
; NumSGPRsForWavesPerEU: 46
; NumVGPRsForWavesPerEU: 18
; AccumOffset: 20
; Occupancy: 8
; WaveLimiterHint : 1
; COMPUTE_PGM_RSRC2:SCRATCH_EN: 0
; COMPUTE_PGM_RSRC2:USER_SGPR: 6
; COMPUTE_PGM_RSRC2:TRAP_HANDLER: 0
; COMPUTE_PGM_RSRC2:TGID_X_EN: 1
; COMPUTE_PGM_RSRC2:TGID_Y_EN: 0
; COMPUTE_PGM_RSRC2:TGID_Z_EN: 0
; COMPUTE_PGM_RSRC2:TIDIG_COMP_CNT: 0
; COMPUTE_PGM_RSRC3_GFX90A:ACCUM_OFFSET: 4
; COMPUTE_PGM_RSRC3_GFX90A:TG_SPLIT: 0
	.section	.text._ZN2at4cuda17kernelHistogram1DIiilLi1ELi2ELin1ELNS0_23CUDAHistogramMemoryTypeE0EZNS0_21CUDA_tensor_histogramIiiLb0EEEbNS_6TensorES4_S4_lNS_14AccumulateTypeIT0_Lb1EE4typeES8_NS0_13TensorArgTypeES9_S9_EUllE_EEvNS0_6detail10TensorInfoIT_T1_EESF_NSC_IKS6_SE_EElS8_S8_SE_T6_,"axG",@progbits,_ZN2at4cuda17kernelHistogram1DIiilLi1ELi2ELin1ELNS0_23CUDAHistogramMemoryTypeE0EZNS0_21CUDA_tensor_histogramIiiLb0EEEbNS_6TensorES4_S4_lNS_14AccumulateTypeIT0_Lb1EE4typeES8_NS0_13TensorArgTypeES9_S9_EUllE_EEvNS0_6detail10TensorInfoIT_T1_EESF_NSC_IKS6_SE_EElS8_S8_SE_T6_,comdat
	.protected	_ZN2at4cuda17kernelHistogram1DIiilLi1ELi2ELin1ELNS0_23CUDAHistogramMemoryTypeE0EZNS0_21CUDA_tensor_histogramIiiLb0EEEbNS_6TensorES4_S4_lNS_14AccumulateTypeIT0_Lb1EE4typeES8_NS0_13TensorArgTypeES9_S9_EUllE_EEvNS0_6detail10TensorInfoIT_T1_EESF_NSC_IKS6_SE_EElS8_S8_SE_T6_ ; -- Begin function _ZN2at4cuda17kernelHistogram1DIiilLi1ELi2ELin1ELNS0_23CUDAHistogramMemoryTypeE0EZNS0_21CUDA_tensor_histogramIiiLb0EEEbNS_6TensorES4_S4_lNS_14AccumulateTypeIT0_Lb1EE4typeES8_NS0_13TensorArgTypeES9_S9_EUllE_EEvNS0_6detail10TensorInfoIT_T1_EESF_NSC_IKS6_SE_EElS8_S8_SE_T6_
	.globl	_ZN2at4cuda17kernelHistogram1DIiilLi1ELi2ELin1ELNS0_23CUDAHistogramMemoryTypeE0EZNS0_21CUDA_tensor_histogramIiiLb0EEEbNS_6TensorES4_S4_lNS_14AccumulateTypeIT0_Lb1EE4typeES8_NS0_13TensorArgTypeES9_S9_EUllE_EEvNS0_6detail10TensorInfoIT_T1_EESF_NSC_IKS6_SE_EElS8_S8_SE_T6_
	.p2align	8
	.type	_ZN2at4cuda17kernelHistogram1DIiilLi1ELi2ELin1ELNS0_23CUDAHistogramMemoryTypeE0EZNS0_21CUDA_tensor_histogramIiiLb0EEEbNS_6TensorES4_S4_lNS_14AccumulateTypeIT0_Lb1EE4typeES8_NS0_13TensorArgTypeES9_S9_EUllE_EEvNS0_6detail10TensorInfoIT_T1_EESF_NSC_IKS6_SE_EElS8_S8_SE_T6_,@function
_ZN2at4cuda17kernelHistogram1DIiilLi1ELi2ELin1ELNS0_23CUDAHistogramMemoryTypeE0EZNS0_21CUDA_tensor_histogramIiiLb0EEEbNS_6TensorES4_S4_lNS_14AccumulateTypeIT0_Lb1EE4typeES8_NS0_13TensorArgTypeES9_S9_EUllE_EEvNS0_6detail10TensorInfoIT_T1_EESF_NSC_IKS6_SE_EElS8_S8_SE_T6_: ; @_ZN2at4cuda17kernelHistogram1DIiilLi1ELi2ELin1ELNS0_23CUDAHistogramMemoryTypeE0EZNS0_21CUDA_tensor_histogramIiiLb0EEEbNS_6TensorES4_S4_lNS_14AccumulateTypeIT0_Lb1EE4typeES8_NS0_13TensorArgTypeES9_S9_EUllE_EEvNS0_6detail10TensorInfoIT_T1_EESF_NSC_IKS6_SE_EElS8_S8_SE_T6_
; %bb.0:
	s_load_dwordx4 s[16:19], s[4:5], 0x0
	s_load_dwordx2 s[22:23], s[4:5], 0x500
	s_load_dwordx8 s[8:15], s[4:5], 0x4e0
	v_mov_b32_e32 v1, 0
	s_add_u32 s26, s4, 0x6a0
	s_waitcnt lgkmcnt(0)
	v_cmp_gt_i64_e64 s[0:1], s[18:19], v[0:1]
	v_cmp_le_i64_e32 vcc, s[18:19], v[0:1]
	s_addc_u32 s27, s5, 0
                                        ; implicit-def: $sgpr7
	s_and_saveexec_b64 s[2:3], vcc
	s_xor_b64 s[2:3], exec, s[2:3]
	s_cbranch_execz .LBB68_2
; %bb.1:
	s_load_dword s7, s[26:27], 0xc
.LBB68_2:
	s_or_saveexec_b64 s[28:29], s[2:3]
	s_load_dwordx2 s[20:21], s[4:5], 0xd0
	s_load_dwordx2 s[24:25], s[4:5], 0x5d0
	s_waitcnt lgkmcnt(0)
	v_mov_b32_e32 v4, s7
	s_xor_b64 exec, exec, s[28:29]
	s_cbranch_execz .LBB68_16
; %bb.3:
	s_load_dword s7, s[26:27], 0xc
	v_mov_b32_e32 v2, s19
	s_mov_b32 s34, 0
	s_waitcnt lgkmcnt(0)
	s_and_b32 s33, s7, 0xffff
	v_add_co_u32_e32 v4, vcc, s33, v0
	v_addc_co_u32_e64 v5, s[2:3], 0, 0, vcc
	v_cmp_gt_i64_e32 vcc, s[18:19], v[4:5]
	v_cndmask_b32_e32 v6, v5, v2, vcc
	v_mov_b32_e32 v2, s18
	v_cndmask_b32_e32 v3, v4, v2, vcc
	v_cndmask_b32_e64 v2, 0, 1, vcc
	v_add_co_u32_e32 v4, vcc, v4, v2
	v_addc_co_u32_e32 v5, vcc, 0, v5, vcc
	v_sub_co_u32_e32 v3, vcc, v3, v4
	v_subb_co_u32_e32 v5, vcc, v6, v5, vcc
	v_mov_b32_e32 v4, 0
	v_cmp_ne_u64_e32 vcc, 0, v[4:5]
                                        ; implicit-def: $vgpr6_vgpr7
	s_and_saveexec_b64 s[2:3], vcc
	s_xor_b64 s[30:31], exec, s[2:3]
	s_cbranch_execz .LBB68_5
; %bb.4:
	v_cvt_f32_u32_e32 v4, s33
	v_mov_b32_e32 v6, 0x4f800000
	s_sub_u32 s2, 0, s33
	s_subb_u32 s3, 0, 0
	v_mac_f32_e32 v4, 0, v6
	v_rcp_f32_e32 v4, v4
	v_mul_f32_e32 v4, 0x5f7ffffc, v4
	v_mul_f32_e32 v6, 0x2f800000, v4
	v_trunc_f32_e32 v6, v6
	v_madmk_f32 v4, v6, 0xcf800000, v4
	v_cvt_u32_f32_e32 v6, v6
	v_cvt_u32_f32_e32 v4, v4
	v_mul_lo_u32 v7, s2, v6
	v_mul_hi_u32 v9, s2, v4
	v_mul_lo_u32 v8, s3, v4
	v_add_u32_e32 v7, v9, v7
	v_mul_lo_u32 v10, s2, v4
	v_add_u32_e32 v7, v7, v8
	v_mul_hi_u32 v9, v4, v10
	v_mul_lo_u32 v11, v4, v7
	v_mul_hi_u32 v8, v4, v7
	v_add_co_u32_e32 v9, vcc, v9, v11
	v_addc_co_u32_e32 v8, vcc, 0, v8, vcc
	v_mul_hi_u32 v12, v6, v10
	v_mul_lo_u32 v10, v6, v10
	v_add_co_u32_e32 v9, vcc, v9, v10
	v_mul_hi_u32 v11, v6, v7
	v_addc_co_u32_e32 v8, vcc, v8, v12, vcc
	v_addc_co_u32_e32 v9, vcc, 0, v11, vcc
	v_mul_lo_u32 v7, v6, v7
	v_add_co_u32_e32 v7, vcc, v8, v7
	v_addc_co_u32_e32 v8, vcc, 0, v9, vcc
	v_add_co_u32_e32 v4, vcc, v4, v7
	v_addc_co_u32_e32 v6, vcc, v6, v8, vcc
	v_mul_lo_u32 v7, s2, v6
	v_mul_hi_u32 v8, s2, v4
	v_add_u32_e32 v7, v8, v7
	v_mul_lo_u32 v8, s3, v4
	v_add_u32_e32 v7, v7, v8
	v_mul_lo_u32 v9, s2, v4
	v_mul_hi_u32 v10, v6, v9
	v_mul_lo_u32 v11, v6, v9
	v_mul_lo_u32 v13, v4, v7
	v_mul_hi_u32 v9, v4, v9
	v_mul_hi_u32 v12, v4, v7
	v_add_co_u32_e32 v9, vcc, v9, v13
	v_addc_co_u32_e32 v12, vcc, 0, v12, vcc
	v_add_co_u32_e32 v9, vcc, v9, v11
	v_mul_hi_u32 v8, v6, v7
	v_addc_co_u32_e32 v9, vcc, v12, v10, vcc
	v_addc_co_u32_e32 v8, vcc, 0, v8, vcc
	v_mul_lo_u32 v7, v6, v7
	v_add_co_u32_e32 v7, vcc, v9, v7
	v_addc_co_u32_e32 v8, vcc, 0, v8, vcc
	v_add_co_u32_e32 v4, vcc, v4, v7
	v_addc_co_u32_e32 v8, vcc, v6, v8, vcc
	v_mad_u64_u32 v[6:7], s[2:3], v3, v8, 0
	v_mul_hi_u32 v9, v3, v4
	v_add_co_u32_e32 v10, vcc, v9, v6
	v_addc_co_u32_e32 v11, vcc, 0, v7, vcc
	v_mad_u64_u32 v[6:7], s[2:3], v5, v8, 0
	v_mad_u64_u32 v[8:9], s[2:3], v5, v4, 0
	v_add_co_u32_e32 v4, vcc, v10, v8
	v_addc_co_u32_e32 v4, vcc, v11, v9, vcc
	v_addc_co_u32_e32 v7, vcc, 0, v7, vcc
	v_add_co_u32_e32 v10, vcc, v4, v6
	v_addc_co_u32_e32 v11, vcc, 0, v7, vcc
	v_mad_u64_u32 v[6:7], s[2:3], s33, v10, 0
	v_mov_b32_e32 v4, v7
	v_mad_u64_u32 v[8:9], s[2:3], s33, v11, v[4:5]
	v_sub_co_u32_e32 v3, vcc, v3, v6
	v_subb_co_u32_e32 v4, vcc, v5, v8, vcc
	v_subrev_co_u32_e32 v5, vcc, s33, v3
	v_subbrev_co_u32_e32 v6, vcc, 0, v4, vcc
	v_cmp_le_u32_e32 vcc, s33, v5
	v_cndmask_b32_e64 v5, 0, -1, vcc
	v_cmp_eq_u32_e32 vcc, 0, v6
	v_cndmask_b32_e32 v5, -1, v5, vcc
	v_add_co_u32_e32 v6, vcc, 2, v10
	v_addc_co_u32_e32 v7, vcc, 0, v11, vcc
	v_add_co_u32_e32 v8, vcc, 1, v10
	v_cmp_le_u32_e64 s[2:3], s33, v3
	v_addc_co_u32_e32 v9, vcc, 0, v11, vcc
	v_cndmask_b32_e64 v3, 0, -1, s[2:3]
	v_cmp_eq_u32_e64 s[2:3], 0, v4
	v_cmp_ne_u32_e32 vcc, 0, v5
	v_cndmask_b32_e64 v3, -1, v3, s[2:3]
	v_cndmask_b32_e32 v5, v9, v7, vcc
	v_cmp_ne_u32_e64 s[2:3], 0, v3
	v_cndmask_b32_e32 v3, v8, v6, vcc
	v_cndmask_b32_e64 v7, v11, v5, s[2:3]
	v_cndmask_b32_e64 v6, v10, v3, s[2:3]
                                        ; implicit-def: $vgpr3
.LBB68_5:
	s_andn2_saveexec_b64 s[2:3], s[30:31]
	s_cbranch_execz .LBB68_7
; %bb.6:
	v_cvt_f32_u32_e32 v4, s33
	s_sub_i32 s30, 0, s33
	v_mov_b32_e32 v7, 0
	v_rcp_iflag_f32_e32 v4, v4
	v_mul_f32_e32 v4, 0x4f7ffffe, v4
	v_cvt_u32_f32_e32 v4, v4
	v_mul_lo_u32 v5, s30, v4
	v_mul_hi_u32 v5, v4, v5
	v_add_u32_e32 v4, v4, v5
	v_mul_hi_u32 v4, v3, v4
	v_mul_lo_u32 v5, v4, s33
	v_sub_u32_e32 v3, v3, v5
	v_add_u32_e32 v6, 1, v4
	v_subrev_u32_e32 v5, s33, v3
	v_cmp_le_u32_e32 vcc, s33, v3
	v_cndmask_b32_e32 v3, v3, v5, vcc
	v_cndmask_b32_e32 v4, v4, v6, vcc
	v_add_u32_e32 v5, 1, v4
	v_cmp_le_u32_e32 vcc, s33, v3
	v_cndmask_b32_e32 v6, v4, v5, vcc
.LBB68_7:
	s_or_b64 exec, exec, s[2:3]
	v_add_co_u32_e32 v2, vcc, v6, v2
	v_addc_co_u32_e32 v3, vcc, 0, v7, vcc
	v_add_co_u32_e32 v4, vcc, 1, v2
	v_addc_co_u32_e32 v5, vcc, 0, v3, vcc
	v_cmp_lt_u64_e32 vcc, 1, v[4:5]
	v_cmp_eq_u16_e64 s[2:3], s7, 1
	s_and_b64 s[36:37], vcc, s[2:3]
	s_mov_b64 s[30:31], -1
	v_pk_mov_b32 v[2:3], v[0:1], v[0:1] op_sel:[0,1]
                                        ; implicit-def: $sgpr35
	s_and_saveexec_b64 s[2:3], s[36:37]
	s_cbranch_execz .LBB68_11
; %bb.8:
	v_and_b32_e32 v6, -2, v4
	v_mov_b32_e32 v7, v5
	v_lshl_add_u32 v8, v0, 2, 0
	s_mov_b64 s[30:31], 0
	v_mov_b32_e32 v9, 0
	v_pk_mov_b32 v[2:3], v[6:7], v[6:7] op_sel:[0,1]
.LBB68_9:                               ; =>This Inner Loop Header: Depth=1
	v_add_co_u32_e32 v2, vcc, -2, v2
	v_addc_co_u32_e32 v3, vcc, -1, v3, vcc
	v_cmp_eq_u64_e32 vcc, 0, v[2:3]
	ds_write2_b32 v8, v9, v9 offset1:1
	s_or_b64 s[30:31], vcc, s[30:31]
	v_add_u32_e32 v8, 8, v8
	s_andn2_b64 exec, exec, s[30:31]
	s_cbranch_execnz .LBB68_9
; %bb.10:
	s_or_b64 exec, exec, s[30:31]
	v_mad_u64_u32 v[2:3], s[30:31], v6, s33, v[0:1]
	v_mov_b32_e32 v8, v3
	v_mad_u64_u32 v[8:9], s[30:31], v7, s33, v[8:9]
	v_cmp_ne_u64_e32 vcc, v[4:5], v[6:7]
	v_mov_b32_e32 v3, v8
	s_mov_b32 s35, 1
	s_orn2_b64 s[30:31], vcc, exec
.LBB68_11:
	s_or_b64 exec, exec, s[2:3]
	v_mov_b32_e32 v4, s35
	s_and_saveexec_b64 s[2:3], s[30:31]
	s_cbranch_execz .LBB68_15
; %bb.12:
	v_lshl_add_u32 v4, v2, 2, 0
	s_lshl_b32 s35, s33, 2
	s_mov_b64 s[30:31], 0
	v_mov_b32_e32 v5, 0
	v_mov_b32_e32 v6, s34
.LBB68_13:                              ; =>This Inner Loop Header: Depth=1
	v_add_co_u32_e32 v2, vcc, s33, v2
	v_addc_co_u32_e32 v3, vcc, v3, v6, vcc
	v_cmp_le_i64_e32 vcc, s[18:19], v[2:3]
	ds_write_b32 v4, v5
	s_or_b64 s[30:31], vcc, s[30:31]
	v_add_u32_e32 v4, s35, v4
	s_andn2_b64 exec, exec, s[30:31]
	s_cbranch_execnz .LBB68_13
; %bb.14:
	s_or_b64 exec, exec, s[30:31]
	v_mov_b32_e32 v4, s7
.LBB68_15:
	s_or_b64 exec, exec, s[2:3]
.LBB68_16:
	s_or_b64 exec, exec, s[28:29]
	v_and_b32_e32 v2, 0xffff, v4
	v_mad_u64_u32 v[4:5], s[2:3], s6, v2, v[0:1]
	v_mov_b32_e32 v6, 0
	v_mov_b32_e32 v5, v6
	v_cmp_gt_i64_e32 vcc, s[14:15], v[4:5]
	s_waitcnt lgkmcnt(0)
	s_barrier
	s_waitcnt lgkmcnt(0)
                                        ; kill: def $vgpr3 killed $sgpr0 killed $exec
	s_and_saveexec_b64 s[6:7], vcc
	s_cbranch_execz .LBB68_32
; %bb.17:
	s_load_dword s30, s[4:5], 0x4d8
	s_add_u32 s31, s4, 0x340
	s_addc_u32 s35, s5, 0
	s_load_dword s34, s[26:27], 0x0
	s_load_dwordx2 s[28:29], s[4:5], 0x340
	s_waitcnt lgkmcnt(0)
	v_mul_lo_u32 v8, s34, v2
	s_load_dwordx2 s[26:27], s[4:5], 0x410
	s_cmp_gt_i32 s30, 1
	s_cselect_b64 s[2:3], -1, 0
	s_sub_u32 s33, s12, s10
	s_subb_u32 s46, s13, s11
	s_mov_b32 s5, 0
	s_add_i32 s4, s30, -1
	s_add_i32 s47, s30, 1
	s_lshl_b64 s[4:5], s[4:5], 3
	s_add_u32 s4, s4, s31
	s_addc_u32 s5, s5, s35
	s_add_u32 s30, s4, 8
	v_cndmask_b32_e64 v3, 0, 1, s[2:3]
	s_addc_u32 s31, s5, 0
	s_mov_b64 s[34:35], 0
	v_cmp_ne_u32_e64 s[2:3], 1, v3
	s_branch .LBB68_20
.LBB68_18:                              ;   in Loop: Header=BB68_20 Depth=1
	s_or_b64 exec, exec, s[4:5]
	v_mul_lo_u32 v3, v5, s24
	v_mul_lo_u32 v7, v4, s25
	v_mad_u64_u32 v[10:11], s[4:5], v4, s24, 0
	v_add3_u32 v11, v11, v7, v3
	v_lshlrev_b64 v[10:11], 2, v[10:11]
	v_mov_b32_e32 v3, s23
	v_add_co_u32_e32 v10, vcc, s22, v10
	v_addc_co_u32_e32 v11, vcc, v3, v11, vcc
	global_load_dword v3, v[10:11], off
	v_ashrrev_i32_e32 v13, 31, v12
	v_cmp_eq_u64_e32 vcc, s[8:9], v[12:13]
	v_subbrev_co_u32_e32 v7, vcc, 0, v12, vcc
	v_lshl_add_u32 v7, v7, 2, 0
	s_waitcnt vmcnt(0)
	ds_add_u32 v7, v3
.LBB68_19:                              ;   in Loop: Header=BB68_20 Depth=1
	s_or_b64 exec, exec, s[36:37]
	v_add_co_u32_e32 v4, vcc, v4, v8
	v_addc_co_u32_e32 v5, vcc, 0, v5, vcc
	v_cmp_le_i64_e32 vcc, s[14:15], v[4:5]
	s_or_b64 s[34:35], vcc, s[34:35]
	s_andn2_b64 exec, exec, s[34:35]
	s_cbranch_execz .LBB68_32
.LBB68_20:                              ; =>This Loop Header: Depth=1
                                        ;     Child Loop BB68_21 Depth 2
	s_and_b64 vcc, exec, s[2:3]
	v_pk_mov_b32 v[10:11], 0, 0
	s_mov_b64 s[36:37], s[30:31]
	s_mov_b32 s48, s47
	v_pk_mov_b32 v[12:13], v[4:5], v[4:5] op_sel:[0,1]
	v_pk_mov_b32 v[14:15], v[4:5], v[4:5] op_sel:[0,1]
	s_cbranch_vccnz .LBB68_27
.LBB68_21:                              ;   Parent Loop BB68_20 Depth=1
                                        ; =>  This Inner Loop Header: Depth=2
	s_load_dwordx2 s[38:39], s[36:37], 0x0
                                        ; implicit-def: $vgpr14_vgpr15
	s_waitcnt lgkmcnt(0)
	v_or_b32_e32 v7, s39, v13
	v_cmp_ne_u64_e32 vcc, 0, v[6:7]
	s_and_saveexec_b64 s[4:5], vcc
	s_xor_b64 s[40:41], exec, s[4:5]
	s_cbranch_execz .LBB68_23
; %bb.22:                               ;   in Loop: Header=BB68_21 Depth=2
	s_ashr_i32 s42, s39, 31
	s_add_u32 s4, s38, s42
	s_mov_b32 s43, s42
	s_addc_u32 s5, s39, s42
	s_xor_b64 s[44:45], s[4:5], s[42:43]
	v_cvt_f32_u32_e32 v3, s44
	v_cvt_f32_u32_e32 v7, s45
	s_sub_u32 s4, 0, s44
	s_subb_u32 s5, 0, s45
	v_mac_f32_e32 v3, 0x4f800000, v7
	v_rcp_f32_e32 v3, v3
	v_mul_f32_e32 v3, 0x5f7ffffc, v3
	v_mul_f32_e32 v7, 0x2f800000, v3
	v_trunc_f32_e32 v7, v7
	v_mac_f32_e32 v3, 0xcf800000, v7
	v_cvt_u32_f32_e32 v7, v7
	v_cvt_u32_f32_e32 v3, v3
	v_mul_lo_u32 v9, s4, v7
	v_mul_hi_u32 v15, s4, v3
	v_mul_lo_u32 v14, s5, v3
	v_add_u32_e32 v9, v15, v9
	v_mul_lo_u32 v16, s4, v3
	v_add_u32_e32 v9, v9, v14
	v_mul_lo_u32 v15, v3, v9
	v_mul_hi_u32 v17, v3, v16
	v_mul_hi_u32 v14, v3, v9
	v_add_co_u32_e32 v15, vcc, v17, v15
	v_addc_co_u32_e32 v14, vcc, 0, v14, vcc
	v_mul_hi_u32 v18, v7, v16
	v_mul_lo_u32 v16, v7, v16
	v_add_co_u32_e32 v15, vcc, v15, v16
	v_mul_hi_u32 v17, v7, v9
	v_addc_co_u32_e32 v14, vcc, v14, v18, vcc
	v_addc_co_u32_e32 v15, vcc, 0, v17, vcc
	v_mul_lo_u32 v9, v7, v9
	v_add_co_u32_e32 v9, vcc, v14, v9
	v_addc_co_u32_e32 v14, vcc, 0, v15, vcc
	v_add_co_u32_e32 v3, vcc, v3, v9
	v_addc_co_u32_e32 v7, vcc, v7, v14, vcc
	v_mul_lo_u32 v9, s4, v7
	v_mul_hi_u32 v14, s4, v3
	v_add_u32_e32 v9, v14, v9
	v_mul_lo_u32 v14, s5, v3
	v_add_u32_e32 v9, v9, v14
	v_mul_lo_u32 v15, s4, v3
	v_mul_hi_u32 v16, v7, v15
	v_mul_lo_u32 v17, v7, v15
	v_mul_lo_u32 v19, v3, v9
	v_mul_hi_u32 v15, v3, v15
	v_mul_hi_u32 v18, v3, v9
	v_add_co_u32_e32 v15, vcc, v15, v19
	v_addc_co_u32_e32 v18, vcc, 0, v18, vcc
	v_add_co_u32_e32 v15, vcc, v15, v17
	v_mul_hi_u32 v14, v7, v9
	v_addc_co_u32_e32 v15, vcc, v18, v16, vcc
	v_addc_co_u32_e32 v14, vcc, 0, v14, vcc
	v_mul_lo_u32 v9, v7, v9
	v_add_co_u32_e32 v9, vcc, v15, v9
	v_addc_co_u32_e32 v14, vcc, 0, v14, vcc
	v_add_co_u32_e32 v3, vcc, v3, v9
	v_addc_co_u32_e32 v7, vcc, v7, v14, vcc
	v_ashrrev_i32_e32 v9, 31, v13
	v_add_co_u32_e32 v14, vcc, v12, v9
	v_addc_co_u32_e32 v15, vcc, v13, v9, vcc
	v_xor_b32_e32 v19, v14, v9
	v_xor_b32_e32 v18, v15, v9
	v_mad_u64_u32 v[14:15], s[4:5], v19, v7, 0
	v_mul_hi_u32 v16, v19, v3
	v_add_co_u32_e32 v20, vcc, v16, v14
	v_addc_co_u32_e32 v21, vcc, 0, v15, vcc
	v_mad_u64_u32 v[16:17], s[4:5], v18, v3, 0
	v_add_co_u32_e32 v3, vcc, v20, v16
	v_mad_u64_u32 v[14:15], s[4:5], v18, v7, 0
	v_addc_co_u32_e32 v3, vcc, v21, v17, vcc
	v_addc_co_u32_e32 v7, vcc, 0, v15, vcc
	v_add_co_u32_e32 v3, vcc, v3, v14
	v_addc_co_u32_e32 v7, vcc, 0, v7, vcc
	v_mul_lo_u32 v16, s45, v3
	v_mul_lo_u32 v17, s44, v7
	v_mad_u64_u32 v[14:15], s[4:5], s44, v3, 0
	v_add3_u32 v15, v15, v17, v16
	v_sub_u32_e32 v16, v18, v15
	v_mov_b32_e32 v17, s45
	v_sub_co_u32_e32 v14, vcc, v19, v14
	v_subb_co_u32_e64 v16, s[4:5], v16, v17, vcc
	v_subrev_co_u32_e64 v17, s[4:5], s44, v14
	v_subbrev_co_u32_e64 v16, s[4:5], 0, v16, s[4:5]
	v_cmp_le_u32_e64 s[4:5], s45, v16
	v_cndmask_b32_e64 v19, 0, -1, s[4:5]
	v_cmp_le_u32_e64 s[4:5], s44, v17
	v_cndmask_b32_e64 v17, 0, -1, s[4:5]
	v_cmp_eq_u32_e64 s[4:5], s45, v16
	v_cndmask_b32_e64 v16, v19, v17, s[4:5]
	v_add_co_u32_e64 v17, s[4:5], 2, v3
	v_subb_co_u32_e32 v15, vcc, v18, v15, vcc
	v_addc_co_u32_e64 v19, s[4:5], 0, v7, s[4:5]
	v_cmp_le_u32_e32 vcc, s45, v15
	v_add_co_u32_e64 v20, s[4:5], 1, v3
	v_cndmask_b32_e64 v18, 0, -1, vcc
	v_cmp_le_u32_e32 vcc, s44, v14
	v_addc_co_u32_e64 v21, s[4:5], 0, v7, s[4:5]
	v_cndmask_b32_e64 v14, 0, -1, vcc
	v_cmp_eq_u32_e32 vcc, s45, v15
	v_cmp_ne_u32_e64 s[4:5], 0, v16
	v_cndmask_b32_e32 v14, v18, v14, vcc
	v_cmp_ne_u32_e32 vcc, 0, v14
	v_cndmask_b32_e64 v14, v20, v17, s[4:5]
	v_cndmask_b32_e64 v16, v21, v19, s[4:5]
	v_cndmask_b32_e32 v3, v3, v14, vcc
	v_xor_b32_e32 v9, s42, v9
	v_cndmask_b32_e32 v7, v7, v16, vcc
	v_xor_b32_e32 v3, v3, v9
	v_xor_b32_e32 v7, v7, v9
	v_sub_co_u32_e32 v14, vcc, v3, v9
	v_subb_co_u32_e32 v15, vcc, v7, v9, vcc
.LBB68_23:                              ;   in Loop: Header=BB68_21 Depth=2
	s_andn2_saveexec_b64 s[4:5], s[40:41]
	s_cbranch_execz .LBB68_25
; %bb.24:                               ;   in Loop: Header=BB68_21 Depth=2
	v_cvt_f32_u32_e32 v3, s38
	s_sub_i32 s40, 0, s38
	v_mov_b32_e32 v15, v6
	v_rcp_iflag_f32_e32 v3, v3
	v_mul_f32_e32 v3, 0x4f7ffffe, v3
	v_cvt_u32_f32_e32 v3, v3
	v_mul_lo_u32 v7, s40, v3
	v_mul_hi_u32 v7, v3, v7
	v_add_u32_e32 v3, v3, v7
	v_mul_hi_u32 v3, v12, v3
	v_mul_lo_u32 v7, v3, s38
	v_sub_u32_e32 v7, v12, v7
	v_add_u32_e32 v9, 1, v3
	v_subrev_u32_e32 v14, s38, v7
	v_cmp_le_u32_e32 vcc, s38, v7
	v_cndmask_b32_e32 v7, v7, v14, vcc
	v_cndmask_b32_e32 v3, v3, v9, vcc
	v_add_u32_e32 v9, 1, v3
	v_cmp_le_u32_e32 vcc, s38, v7
	v_cndmask_b32_e32 v14, v3, v9, vcc
.LBB68_25:                              ;   in Loop: Header=BB68_21 Depth=2
	s_or_b64 exec, exec, s[4:5]
	v_mad_u64_u32 v[16:17], s[4:5], v14, s38, 0
	s_load_dwordx2 s[4:5], s[36:37], 0xc8
	v_mul_lo_u32 v3, v15, s38
	v_mul_lo_u32 v7, v14, s39
	v_add3_u32 v3, v17, v7, v3
	v_sub_co_u32_e32 v7, vcc, v12, v16
	s_add_i32 s48, s48, -1
	v_subb_co_u32_e32 v3, vcc, v13, v3, vcc
	s_add_u32 s36, s36, -8
	s_waitcnt lgkmcnt(0)
	v_mul_lo_u32 v3, s4, v3
	v_mul_lo_u32 v9, s5, v7
	v_mad_u64_u32 v[10:11], s[4:5], s4, v7, v[10:11]
	s_addc_u32 s37, s37, -1
	s_cmp_gt_u32 s48, 2
	v_add3_u32 v11, v9, v11, v3
	s_cbranch_scc0 .LBB68_27
; %bb.26:                               ;   in Loop: Header=BB68_21 Depth=2
	v_pk_mov_b32 v[12:13], v[14:15], v[14:15] op_sel:[0,1]
	s_branch .LBB68_21
.LBB68_27:                              ;   in Loop: Header=BB68_20 Depth=1
	s_waitcnt lgkmcnt(0)
	v_mul_lo_u32 v3, s27, v14
	v_mul_lo_u32 v7, s26, v15
	v_mad_u64_u32 v[12:13], s[4:5], s26, v14, 0
	v_add3_u32 v13, v13, v7, v3
	v_lshlrev_b64 v[12:13], 2, v[12:13]
	v_mov_b32_e32 v3, s29
	v_add_co_u32_e32 v7, vcc, s28, v12
	v_addc_co_u32_e32 v3, vcc, v3, v13, vcc
	v_lshlrev_b64 v[10:11], 2, v[10:11]
	v_add_co_u32_e32 v10, vcc, v7, v10
	v_addc_co_u32_e32 v11, vcc, v3, v11, vcc
	global_load_dword v10, v[10:11], off
	s_waitcnt vmcnt(0)
	v_ashrrev_i32_e32 v11, 31, v10
	v_cmp_le_i64_e32 vcc, s[10:11], v[10:11]
	v_cmp_ge_i64_e64 s[4:5], s[12:13], v[10:11]
	s_and_b64 s[4:5], vcc, s[4:5]
	s_and_saveexec_b64 s[36:37], s[4:5]
	s_cbranch_execz .LBB68_19
; %bb.28:                               ;   in Loop: Header=BB68_20 Depth=1
	v_mov_b32_e32 v3, s11
	v_subrev_co_u32_e32 v7, vcc, s10, v10
	v_subb_co_u32_e32 v3, vcc, v11, v3, vcc
	v_mul_lo_u32 v3, v3, s8
	v_mul_lo_u32 v9, v7, s9
	v_mad_u64_u32 v[10:11], s[4:5], v7, s8, 0
	v_add3_u32 v11, v11, v9, v3
	v_or_b32_e32 v7, s46, v11
	v_cmp_ne_u64_e32 vcc, 0, v[6:7]
                                        ; implicit-def: $vgpr12_vgpr13
	s_and_saveexec_b64 s[4:5], vcc
	s_xor_b64 s[38:39], exec, s[4:5]
	s_cbranch_execz .LBB68_30
; %bb.29:                               ;   in Loop: Header=BB68_20 Depth=1
	s_ashr_i32 s40, s46, 31
	s_add_u32 s4, s33, s40
	s_mov_b32 s41, s40
	s_addc_u32 s5, s46, s40
	s_xor_b64 s[42:43], s[4:5], s[40:41]
	v_cvt_f32_u32_e32 v3, s42
	v_cvt_f32_u32_e32 v7, s43
	s_sub_u32 s4, 0, s42
	s_subb_u32 s5, 0, s43
	v_mac_f32_e32 v3, 0x4f800000, v7
	v_rcp_f32_e32 v3, v3
	v_mul_f32_e32 v3, 0x5f7ffffc, v3
	v_mul_f32_e32 v7, 0x2f800000, v3
	v_trunc_f32_e32 v7, v7
	v_mac_f32_e32 v3, 0xcf800000, v7
	v_cvt_u32_f32_e32 v7, v7
	v_cvt_u32_f32_e32 v3, v3
	v_mul_lo_u32 v9, s4, v7
	v_mul_hi_u32 v13, s4, v3
	v_mul_lo_u32 v12, s5, v3
	v_add_u32_e32 v9, v13, v9
	v_mul_lo_u32 v14, s4, v3
	v_add_u32_e32 v9, v9, v12
	v_mul_lo_u32 v13, v3, v9
	v_mul_hi_u32 v15, v3, v14
	v_mul_hi_u32 v12, v3, v9
	v_add_co_u32_e32 v13, vcc, v15, v13
	v_addc_co_u32_e32 v12, vcc, 0, v12, vcc
	v_mul_hi_u32 v16, v7, v14
	v_mul_lo_u32 v14, v7, v14
	v_add_co_u32_e32 v13, vcc, v13, v14
	v_mul_hi_u32 v15, v7, v9
	v_addc_co_u32_e32 v12, vcc, v12, v16, vcc
	v_addc_co_u32_e32 v13, vcc, 0, v15, vcc
	v_mul_lo_u32 v9, v7, v9
	v_add_co_u32_e32 v9, vcc, v12, v9
	v_addc_co_u32_e32 v12, vcc, 0, v13, vcc
	v_add_co_u32_e32 v3, vcc, v3, v9
	v_addc_co_u32_e32 v7, vcc, v7, v12, vcc
	v_mul_lo_u32 v9, s4, v7
	v_mul_hi_u32 v12, s4, v3
	v_add_u32_e32 v9, v12, v9
	v_mul_lo_u32 v12, s5, v3
	v_add_u32_e32 v9, v9, v12
	v_mul_lo_u32 v13, s4, v3
	v_mul_hi_u32 v14, v7, v13
	v_mul_lo_u32 v15, v7, v13
	v_mul_lo_u32 v17, v3, v9
	v_mul_hi_u32 v13, v3, v13
	v_mul_hi_u32 v16, v3, v9
	v_add_co_u32_e32 v13, vcc, v13, v17
	v_addc_co_u32_e32 v16, vcc, 0, v16, vcc
	v_add_co_u32_e32 v13, vcc, v13, v15
	v_mul_hi_u32 v12, v7, v9
	v_addc_co_u32_e32 v13, vcc, v16, v14, vcc
	v_addc_co_u32_e32 v12, vcc, 0, v12, vcc
	v_mul_lo_u32 v9, v7, v9
	v_add_co_u32_e32 v9, vcc, v13, v9
	v_addc_co_u32_e32 v12, vcc, 0, v12, vcc
	v_add_co_u32_e32 v3, vcc, v3, v9
	v_addc_co_u32_e32 v7, vcc, v7, v12, vcc
	v_ashrrev_i32_e32 v9, 31, v11
	v_add_co_u32_e32 v10, vcc, v10, v9
	v_addc_co_u32_e32 v11, vcc, v11, v9, vcc
	v_xor_b32_e32 v15, v10, v9
	v_xor_b32_e32 v14, v11, v9
	v_mad_u64_u32 v[10:11], s[4:5], v15, v7, 0
	v_mul_hi_u32 v12, v15, v3
	v_add_co_u32_e32 v16, vcc, v12, v10
	v_addc_co_u32_e32 v17, vcc, 0, v11, vcc
	v_mad_u64_u32 v[12:13], s[4:5], v14, v3, 0
	v_add_co_u32_e32 v3, vcc, v16, v12
	v_mad_u64_u32 v[10:11], s[4:5], v14, v7, 0
	v_addc_co_u32_e32 v3, vcc, v17, v13, vcc
	v_addc_co_u32_e32 v7, vcc, 0, v11, vcc
	v_add_co_u32_e32 v3, vcc, v3, v10
	v_addc_co_u32_e32 v7, vcc, 0, v7, vcc
	v_mul_lo_u32 v12, s43, v3
	v_mul_lo_u32 v7, s42, v7
	v_mad_u64_u32 v[10:11], s[4:5], s42, v3, 0
	v_add3_u32 v7, v11, v7, v12
	v_sub_u32_e32 v11, v14, v7
	v_mov_b32_e32 v12, s43
	v_sub_co_u32_e32 v10, vcc, v15, v10
	v_subb_co_u32_e64 v11, s[4:5], v11, v12, vcc
	v_subrev_co_u32_e64 v12, s[4:5], s42, v10
	v_subbrev_co_u32_e64 v11, s[4:5], 0, v11, s[4:5]
	v_cmp_le_u32_e64 s[4:5], s43, v11
	v_subb_co_u32_e32 v7, vcc, v14, v7, vcc
	v_cndmask_b32_e64 v13, 0, -1, s[4:5]
	v_cmp_le_u32_e64 s[4:5], s42, v12
	v_cmp_le_u32_e32 vcc, s43, v7
	v_cndmask_b32_e64 v12, 0, -1, s[4:5]
	v_cmp_eq_u32_e64 s[4:5], s43, v11
	v_cndmask_b32_e64 v14, 0, -1, vcc
	v_cmp_le_u32_e32 vcc, s42, v10
	v_cndmask_b32_e64 v11, v13, v12, s[4:5]
	v_cndmask_b32_e64 v10, 0, -1, vcc
	v_cmp_eq_u32_e32 vcc, s43, v7
	v_add_co_u32_e64 v12, s[4:5], 2, v3
	v_add_co_u32_e64 v13, s[4:5], 1, v3
	v_cndmask_b32_e32 v7, v14, v10, vcc
	v_cmp_ne_u32_e32 vcc, 0, v11
	v_cndmask_b32_e32 v10, v13, v12, vcc
	v_cmp_ne_u32_e32 vcc, 0, v7
	v_cndmask_b32_e32 v3, v3, v10, vcc
	v_xor_b32_e32 v7, s40, v9
	v_xor_b32_e32 v3, v3, v7
	v_sub_co_u32_e32 v12, vcc, v3, v7
                                        ; implicit-def: $vgpr10_vgpr11
.LBB68_30:                              ;   in Loop: Header=BB68_20 Depth=1
	s_andn2_saveexec_b64 s[4:5], s[38:39]
	s_cbranch_execz .LBB68_18
; %bb.31:                               ;   in Loop: Header=BB68_20 Depth=1
	v_cvt_f32_u32_e32 v3, s33
	s_sub_i32 s38, 0, s33
	v_rcp_iflag_f32_e32 v3, v3
	v_mul_f32_e32 v3, 0x4f7ffffe, v3
	v_cvt_u32_f32_e32 v3, v3
	v_mul_lo_u32 v7, s38, v3
	v_mul_hi_u32 v7, v3, v7
	v_add_u32_e32 v3, v3, v7
	v_mul_hi_u32 v3, v10, v3
	v_mul_lo_u32 v7, v3, s33
	v_sub_u32_e32 v7, v10, v7
	v_add_u32_e32 v9, 1, v3
	v_subrev_u32_e32 v10, s33, v7
	v_cmp_le_u32_e32 vcc, s33, v7
	v_cndmask_b32_e32 v7, v7, v10, vcc
	v_cndmask_b32_e32 v3, v3, v9, vcc
	v_add_u32_e32 v9, 1, v3
	v_cmp_le_u32_e32 vcc, s33, v7
	v_cndmask_b32_e32 v12, v3, v9, vcc
	s_branch .LBB68_18
.LBB68_32:
	s_or_b64 exec, exec, s[6:7]
; %bb.33:
	s_waitcnt lgkmcnt(0)
	s_barrier
	s_and_saveexec_b64 s[2:3], s[0:1]
	s_cbranch_execz .LBB68_36
; %bb.34:
	v_mad_u64_u32 v[4:5], s[0:1], s20, v0, 0
	v_mov_b32_e32 v6, v5
	v_mad_u64_u32 v[6:7], s[0:1], s21, v0, v[6:7]
	v_mov_b32_e32 v5, v6
	;; [unrolled: 2-line block ×3, first 2 shown]
	v_lshlrev_b64 v[4:5], 2, v[4:5]
	v_mad_u64_u32 v[8:9], s[0:1], s21, v2, v[8:9]
	v_mov_b32_e32 v3, s17
	v_add_co_u32_e32 v4, vcc, s16, v4
	v_mov_b32_e32 v7, v8
	v_addc_co_u32_e32 v5, vcc, v3, v5, vcc
	v_lshlrev_b64 v[6:7], 2, v[6:7]
	v_lshl_add_u32 v3, v0, 2, 0
	v_lshlrev_b32_e32 v8, 2, v2
	s_mov_b64 s[0:1], 0
.LBB68_35:                              ; =>This Inner Loop Header: Depth=1
	ds_read_b32 v9, v3
	v_add_co_u32_e32 v0, vcc, v0, v2
	v_addc_co_u32_e32 v1, vcc, 0, v1, vcc
	s_waitcnt lgkmcnt(0)
	global_atomic_add v[4:5], v9, off
	v_cmp_le_i64_e32 vcc, s[18:19], v[0:1]
	s_or_b64 s[0:1], vcc, s[0:1]
	v_add_co_u32_e32 v4, vcc, v4, v6
	v_add_u32_e32 v3, v3, v8
	v_addc_co_u32_e32 v5, vcc, v5, v7, vcc
	s_andn2_b64 exec, exec, s[0:1]
	s_cbranch_execnz .LBB68_35
.LBB68_36:
	s_endpgm
	.section	.rodata,"a",@progbits
	.p2align	6, 0x0
	.amdhsa_kernel _ZN2at4cuda17kernelHistogram1DIiilLi1ELi2ELin1ELNS0_23CUDAHistogramMemoryTypeE0EZNS0_21CUDA_tensor_histogramIiiLb0EEEbNS_6TensorES4_S4_lNS_14AccumulateTypeIT0_Lb1EE4typeES8_NS0_13TensorArgTypeES9_S9_EUllE_EEvNS0_6detail10TensorInfoIT_T1_EESF_NSC_IKS6_SE_EElS8_S8_SE_T6_
		.amdhsa_group_segment_fixed_size 0
		.amdhsa_private_segment_fixed_size 0
		.amdhsa_kernarg_size 1952
		.amdhsa_user_sgpr_count 6
		.amdhsa_user_sgpr_private_segment_buffer 1
		.amdhsa_user_sgpr_dispatch_ptr 0
		.amdhsa_user_sgpr_queue_ptr 0
		.amdhsa_user_sgpr_kernarg_segment_ptr 1
		.amdhsa_user_sgpr_dispatch_id 0
		.amdhsa_user_sgpr_flat_scratch_init 0
		.amdhsa_user_sgpr_kernarg_preload_length 0
		.amdhsa_user_sgpr_kernarg_preload_offset 0
		.amdhsa_user_sgpr_private_segment_size 0
		.amdhsa_uses_dynamic_stack 0
		.amdhsa_system_sgpr_private_segment_wavefront_offset 0
		.amdhsa_system_sgpr_workgroup_id_x 1
		.amdhsa_system_sgpr_workgroup_id_y 0
		.amdhsa_system_sgpr_workgroup_id_z 0
		.amdhsa_system_sgpr_workgroup_info 0
		.amdhsa_system_vgpr_workitem_id 0
		.amdhsa_next_free_vgpr 22
		.amdhsa_next_free_sgpr 49
		.amdhsa_accum_offset 24
		.amdhsa_reserve_vcc 1
		.amdhsa_reserve_flat_scratch 0
		.amdhsa_float_round_mode_32 0
		.amdhsa_float_round_mode_16_64 0
		.amdhsa_float_denorm_mode_32 3
		.amdhsa_float_denorm_mode_16_64 3
		.amdhsa_dx10_clamp 1
		.amdhsa_ieee_mode 1
		.amdhsa_fp16_overflow 0
		.amdhsa_tg_split 0
		.amdhsa_exception_fp_ieee_invalid_op 0
		.amdhsa_exception_fp_denorm_src 0
		.amdhsa_exception_fp_ieee_div_zero 0
		.amdhsa_exception_fp_ieee_overflow 0
		.amdhsa_exception_fp_ieee_underflow 0
		.amdhsa_exception_fp_ieee_inexact 0
		.amdhsa_exception_int_div_zero 0
	.end_amdhsa_kernel
	.section	.text._ZN2at4cuda17kernelHistogram1DIiilLi1ELi2ELin1ELNS0_23CUDAHistogramMemoryTypeE0EZNS0_21CUDA_tensor_histogramIiiLb0EEEbNS_6TensorES4_S4_lNS_14AccumulateTypeIT0_Lb1EE4typeES8_NS0_13TensorArgTypeES9_S9_EUllE_EEvNS0_6detail10TensorInfoIT_T1_EESF_NSC_IKS6_SE_EElS8_S8_SE_T6_,"axG",@progbits,_ZN2at4cuda17kernelHistogram1DIiilLi1ELi2ELin1ELNS0_23CUDAHistogramMemoryTypeE0EZNS0_21CUDA_tensor_histogramIiiLb0EEEbNS_6TensorES4_S4_lNS_14AccumulateTypeIT0_Lb1EE4typeES8_NS0_13TensorArgTypeES9_S9_EUllE_EEvNS0_6detail10TensorInfoIT_T1_EESF_NSC_IKS6_SE_EElS8_S8_SE_T6_,comdat
.Lfunc_end68:
	.size	_ZN2at4cuda17kernelHistogram1DIiilLi1ELi2ELin1ELNS0_23CUDAHistogramMemoryTypeE0EZNS0_21CUDA_tensor_histogramIiiLb0EEEbNS_6TensorES4_S4_lNS_14AccumulateTypeIT0_Lb1EE4typeES8_NS0_13TensorArgTypeES9_S9_EUllE_EEvNS0_6detail10TensorInfoIT_T1_EESF_NSC_IKS6_SE_EElS8_S8_SE_T6_, .Lfunc_end68-_ZN2at4cuda17kernelHistogram1DIiilLi1ELi2ELin1ELNS0_23CUDAHistogramMemoryTypeE0EZNS0_21CUDA_tensor_histogramIiiLb0EEEbNS_6TensorES4_S4_lNS_14AccumulateTypeIT0_Lb1EE4typeES8_NS0_13TensorArgTypeES9_S9_EUllE_EEvNS0_6detail10TensorInfoIT_T1_EESF_NSC_IKS6_SE_EElS8_S8_SE_T6_
                                        ; -- End function
	.section	.AMDGPU.csdata,"",@progbits
; Kernel info:
; codeLenInByte = 3456
; NumSgprs: 53
; NumVgprs: 22
; NumAgprs: 0
; TotalNumVgprs: 22
; ScratchSize: 0
; MemoryBound: 0
; FloatMode: 240
; IeeeMode: 1
; LDSByteSize: 0 bytes/workgroup (compile time only)
; SGPRBlocks: 6
; VGPRBlocks: 2
; NumSGPRsForWavesPerEU: 53
; NumVGPRsForWavesPerEU: 22
; AccumOffset: 24
; Occupancy: 8
; WaveLimiterHint : 1
; COMPUTE_PGM_RSRC2:SCRATCH_EN: 0
; COMPUTE_PGM_RSRC2:USER_SGPR: 6
; COMPUTE_PGM_RSRC2:TRAP_HANDLER: 0
; COMPUTE_PGM_RSRC2:TGID_X_EN: 1
; COMPUTE_PGM_RSRC2:TGID_Y_EN: 0
; COMPUTE_PGM_RSRC2:TGID_Z_EN: 0
; COMPUTE_PGM_RSRC2:TIDIG_COMP_CNT: 0
; COMPUTE_PGM_RSRC3_GFX90A:ACCUM_OFFSET: 5
; COMPUTE_PGM_RSRC3_GFX90A:TG_SPLIT: 0
	.section	.text._ZN2at4cuda17kernelHistogram1DIiilLi1ELi2ELin1ELNS0_23CUDAHistogramMemoryTypeE1EZNS0_21CUDA_tensor_histogramIiiLb0EEEbNS_6TensorES4_S4_lNS_14AccumulateTypeIT0_Lb1EE4typeES8_NS0_13TensorArgTypeES9_S9_EUllE_EEvNS0_6detail10TensorInfoIT_T1_EESF_NSC_IKS6_SE_EElS8_S8_SE_T6_,"axG",@progbits,_ZN2at4cuda17kernelHistogram1DIiilLi1ELi2ELin1ELNS0_23CUDAHistogramMemoryTypeE1EZNS0_21CUDA_tensor_histogramIiiLb0EEEbNS_6TensorES4_S4_lNS_14AccumulateTypeIT0_Lb1EE4typeES8_NS0_13TensorArgTypeES9_S9_EUllE_EEvNS0_6detail10TensorInfoIT_T1_EESF_NSC_IKS6_SE_EElS8_S8_SE_T6_,comdat
	.protected	_ZN2at4cuda17kernelHistogram1DIiilLi1ELi2ELin1ELNS0_23CUDAHistogramMemoryTypeE1EZNS0_21CUDA_tensor_histogramIiiLb0EEEbNS_6TensorES4_S4_lNS_14AccumulateTypeIT0_Lb1EE4typeES8_NS0_13TensorArgTypeES9_S9_EUllE_EEvNS0_6detail10TensorInfoIT_T1_EESF_NSC_IKS6_SE_EElS8_S8_SE_T6_ ; -- Begin function _ZN2at4cuda17kernelHistogram1DIiilLi1ELi2ELin1ELNS0_23CUDAHistogramMemoryTypeE1EZNS0_21CUDA_tensor_histogramIiiLb0EEEbNS_6TensorES4_S4_lNS_14AccumulateTypeIT0_Lb1EE4typeES8_NS0_13TensorArgTypeES9_S9_EUllE_EEvNS0_6detail10TensorInfoIT_T1_EESF_NSC_IKS6_SE_EElS8_S8_SE_T6_
	.globl	_ZN2at4cuda17kernelHistogram1DIiilLi1ELi2ELin1ELNS0_23CUDAHistogramMemoryTypeE1EZNS0_21CUDA_tensor_histogramIiiLb0EEEbNS_6TensorES4_S4_lNS_14AccumulateTypeIT0_Lb1EE4typeES8_NS0_13TensorArgTypeES9_S9_EUllE_EEvNS0_6detail10TensorInfoIT_T1_EESF_NSC_IKS6_SE_EElS8_S8_SE_T6_
	.p2align	8
	.type	_ZN2at4cuda17kernelHistogram1DIiilLi1ELi2ELin1ELNS0_23CUDAHistogramMemoryTypeE1EZNS0_21CUDA_tensor_histogramIiiLb0EEEbNS_6TensorES4_S4_lNS_14AccumulateTypeIT0_Lb1EE4typeES8_NS0_13TensorArgTypeES9_S9_EUllE_EEvNS0_6detail10TensorInfoIT_T1_EESF_NSC_IKS6_SE_EElS8_S8_SE_T6_,@function
_ZN2at4cuda17kernelHistogram1DIiilLi1ELi2ELin1ELNS0_23CUDAHistogramMemoryTypeE1EZNS0_21CUDA_tensor_histogramIiiLb0EEEbNS_6TensorES4_S4_lNS_14AccumulateTypeIT0_Lb1EE4typeES8_NS0_13TensorArgTypeES9_S9_EUllE_EEvNS0_6detail10TensorInfoIT_T1_EESF_NSC_IKS6_SE_EElS8_S8_SE_T6_: ; @_ZN2at4cuda17kernelHistogram1DIiilLi1ELi2ELin1ELNS0_23CUDAHistogramMemoryTypeE1EZNS0_21CUDA_tensor_histogramIiiLb0EEEbNS_6TensorES4_S4_lNS_14AccumulateTypeIT0_Lb1EE4typeES8_NS0_13TensorArgTypeES9_S9_EUllE_EEvNS0_6detail10TensorInfoIT_T1_EESF_NSC_IKS6_SE_EElS8_S8_SE_T6_
; %bb.0:
	s_load_dword s2, s[4:5], 0x6ac
	s_load_dwordx8 s[8:15], s[4:5], 0x4e0
	s_add_u32 s0, s4, 0x6a0
	s_addc_u32 s1, s5, 0
	v_mov_b32_e32 v2, 0
	s_waitcnt lgkmcnt(0)
	s_and_b32 s2, s2, 0xffff
	s_mul_i32 s6, s6, s2
	v_add_u32_e32 v0, s6, v0
	v_mov_b32_e32 v1, v2
	v_cmp_gt_i64_e32 vcc, s[14:15], v[0:1]
	s_and_saveexec_b64 s[6:7], vcc
	s_cbranch_execz .LBB69_16
; %bb.1:
	s_load_dwordx2 s[6:7], s[4:5], 0x5d0
	s_load_dwordx2 s[16:17], s[4:5], 0x500
	s_load_dword s3, s[4:5], 0x4d8
	s_load_dwordx2 s[18:19], s[4:5], 0x0
	s_load_dwordx2 s[20:21], s[4:5], 0xd0
	s_load_dword s28, s[0:1], 0x0
	s_add_u32 s26, s4, 0x340
	s_addc_u32 s27, s5, 0
	s_mov_b32 s42, 0
	s_waitcnt lgkmcnt(0)
	s_cmp_gt_i32 s3, 1
	s_cselect_b64 s[0:1], -1, 0
	s_sub_u32 s33, s12, s10
	s_subb_u32 s40, s13, s11
	s_mul_i32 s41, s28, s2
	s_add_i32 s43, s3, 1
	s_add_i32 s2, s3, -1
	s_mov_b32 s3, s42
	s_load_dwordx2 s[22:23], s[4:5], 0x410
	s_load_dwordx2 s[24:25], s[4:5], 0x340
	s_lshl_b64 s[2:3], s[2:3], 3
	s_add_u32 s2, s2, s26
	s_addc_u32 s3, s3, s27
	s_add_u32 s4, s2, 8
	v_cndmask_b32_e64 v3, 0, 1, s[0:1]
	s_addc_u32 s5, s3, 0
	s_mov_b64 s[26:27], 0
	v_cmp_ne_u32_e64 s[0:1], 1, v3
	s_branch .LBB69_4
.LBB69_2:                               ;   in Loop: Header=BB69_4 Depth=1
	s_or_b64 exec, exec, s[2:3]
	v_mul_lo_u32 v3, v1, s6
	v_mul_lo_u32 v7, v0, s7
	v_mad_u64_u32 v[4:5], s[2:3], v0, s6, 0
	v_add3_u32 v5, v5, v7, v3
	v_lshlrev_b64 v[4:5], 2, v[4:5]
	v_mov_b32_e32 v3, s17
	v_add_co_u32_e32 v4, vcc, s16, v4
	v_addc_co_u32_e32 v5, vcc, v3, v5, vcc
	global_load_dword v3, v[4:5], off
	v_ashrrev_i32_e32 v7, 31, v6
	v_cmp_eq_u64_e32 vcc, s[8:9], v[6:7]
	v_cndmask_b32_e64 v4, 0, 1, vcc
	v_sub_co_u32_e32 v4, vcc, v6, v4
	v_subbrev_co_u32_e32 v5, vcc, 0, v7, vcc
	v_mul_lo_u32 v6, v5, s20
	v_mul_lo_u32 v7, v4, s21
	v_mad_u64_u32 v[4:5], s[2:3], v4, s20, 0
	v_add3_u32 v5, v5, v7, v6
	v_lshlrev_b64 v[4:5], 2, v[4:5]
	v_mov_b32_e32 v6, s19
	v_add_co_u32_e32 v4, vcc, s18, v4
	v_addc_co_u32_e32 v5, vcc, v6, v5, vcc
	s_waitcnt vmcnt(0)
	global_atomic_add v[4:5], v3, off
.LBB69_3:                               ;   in Loop: Header=BB69_4 Depth=1
	s_or_b64 exec, exec, s[28:29]
	v_mov_b32_e32 v3, s42
	v_add_co_u32_e32 v0, vcc, s41, v0
	v_addc_co_u32_e32 v1, vcc, v1, v3, vcc
	v_cmp_le_i64_e32 vcc, s[14:15], v[0:1]
	s_or_b64 s[26:27], vcc, s[26:27]
	s_andn2_b64 exec, exec, s[26:27]
	s_cbranch_execz .LBB69_16
.LBB69_4:                               ; =>This Loop Header: Depth=1
                                        ;     Child Loop BB69_5 Depth 2
	s_and_b64 vcc, exec, s[0:1]
	v_pk_mov_b32 v[4:5], 0, 0
	s_mov_b64 s[28:29], s[4:5]
	s_mov_b32 s44, s43
	v_pk_mov_b32 v[6:7], v[0:1], v[0:1] op_sel:[0,1]
	v_pk_mov_b32 v[8:9], v[0:1], v[0:1] op_sel:[0,1]
	s_cbranch_vccnz .LBB69_11
.LBB69_5:                               ;   Parent Loop BB69_4 Depth=1
                                        ; =>  This Inner Loop Header: Depth=2
	s_load_dwordx2 s[30:31], s[28:29], 0x0
                                        ; implicit-def: $vgpr8_vgpr9
	s_waitcnt lgkmcnt(0)
	v_or_b32_e32 v3, s31, v7
	v_cmp_ne_u64_e32 vcc, 0, v[2:3]
	s_and_saveexec_b64 s[2:3], vcc
	s_xor_b64 s[34:35], exec, s[2:3]
	s_cbranch_execz .LBB69_7
; %bb.6:                                ;   in Loop: Header=BB69_5 Depth=2
	s_ashr_i32 s36, s31, 31
	s_add_u32 s2, s30, s36
	s_mov_b32 s37, s36
	s_addc_u32 s3, s31, s36
	s_xor_b64 s[38:39], s[2:3], s[36:37]
	v_cvt_f32_u32_e32 v3, s38
	v_cvt_f32_u32_e32 v8, s39
	s_sub_u32 s2, 0, s38
	s_subb_u32 s3, 0, s39
	v_mac_f32_e32 v3, 0x4f800000, v8
	v_rcp_f32_e32 v3, v3
	v_mul_f32_e32 v3, 0x5f7ffffc, v3
	v_mul_f32_e32 v8, 0x2f800000, v3
	v_trunc_f32_e32 v8, v8
	v_mac_f32_e32 v3, 0xcf800000, v8
	v_cvt_u32_f32_e32 v8, v8
	v_cvt_u32_f32_e32 v3, v3
	v_mul_lo_u32 v9, s2, v8
	v_mul_hi_u32 v11, s2, v3
	v_mul_lo_u32 v10, s3, v3
	v_add_u32_e32 v9, v11, v9
	v_mul_lo_u32 v12, s2, v3
	v_add_u32_e32 v9, v9, v10
	v_mul_lo_u32 v11, v3, v9
	v_mul_hi_u32 v13, v3, v12
	v_mul_hi_u32 v10, v3, v9
	v_add_co_u32_e32 v11, vcc, v13, v11
	v_addc_co_u32_e32 v10, vcc, 0, v10, vcc
	v_mul_hi_u32 v14, v8, v12
	v_mul_lo_u32 v12, v8, v12
	v_add_co_u32_e32 v11, vcc, v11, v12
	v_mul_hi_u32 v13, v8, v9
	v_addc_co_u32_e32 v10, vcc, v10, v14, vcc
	v_addc_co_u32_e32 v11, vcc, 0, v13, vcc
	v_mul_lo_u32 v9, v8, v9
	v_add_co_u32_e32 v9, vcc, v10, v9
	v_addc_co_u32_e32 v10, vcc, 0, v11, vcc
	v_add_co_u32_e32 v3, vcc, v3, v9
	v_addc_co_u32_e32 v8, vcc, v8, v10, vcc
	v_mul_lo_u32 v9, s2, v8
	v_mul_hi_u32 v10, s2, v3
	v_add_u32_e32 v9, v10, v9
	v_mul_lo_u32 v10, s3, v3
	v_add_u32_e32 v9, v9, v10
	v_mul_lo_u32 v11, s2, v3
	v_mul_hi_u32 v12, v8, v11
	v_mul_lo_u32 v13, v8, v11
	v_mul_lo_u32 v15, v3, v9
	v_mul_hi_u32 v11, v3, v11
	v_mul_hi_u32 v14, v3, v9
	v_add_co_u32_e32 v11, vcc, v11, v15
	v_addc_co_u32_e32 v14, vcc, 0, v14, vcc
	v_add_co_u32_e32 v11, vcc, v11, v13
	v_mul_hi_u32 v10, v8, v9
	v_addc_co_u32_e32 v11, vcc, v14, v12, vcc
	v_addc_co_u32_e32 v10, vcc, 0, v10, vcc
	v_mul_lo_u32 v9, v8, v9
	v_add_co_u32_e32 v9, vcc, v11, v9
	v_addc_co_u32_e32 v10, vcc, 0, v10, vcc
	v_add_co_u32_e32 v3, vcc, v3, v9
	v_addc_co_u32_e32 v10, vcc, v8, v10, vcc
	v_ashrrev_i32_e32 v12, 31, v7
	v_add_co_u32_e32 v8, vcc, v6, v12
	v_addc_co_u32_e32 v9, vcc, v7, v12, vcc
	v_xor_b32_e32 v14, v8, v12
	v_xor_b32_e32 v13, v9, v12
	v_mad_u64_u32 v[8:9], s[2:3], v14, v10, 0
	v_mul_hi_u32 v11, v14, v3
	v_add_co_u32_e32 v15, vcc, v11, v8
	v_addc_co_u32_e32 v16, vcc, 0, v9, vcc
	v_mad_u64_u32 v[8:9], s[2:3], v13, v10, 0
	v_mad_u64_u32 v[10:11], s[2:3], v13, v3, 0
	v_add_co_u32_e32 v3, vcc, v15, v10
	v_addc_co_u32_e32 v3, vcc, v16, v11, vcc
	v_addc_co_u32_e32 v9, vcc, 0, v9, vcc
	v_add_co_u32_e32 v3, vcc, v3, v8
	v_addc_co_u32_e32 v10, vcc, 0, v9, vcc
	v_mul_lo_u32 v11, s39, v3
	v_mul_lo_u32 v15, s38, v10
	v_mad_u64_u32 v[8:9], s[2:3], s38, v3, 0
	v_add3_u32 v9, v9, v15, v11
	v_sub_u32_e32 v11, v13, v9
	v_mov_b32_e32 v15, s39
	v_sub_co_u32_e32 v8, vcc, v14, v8
	v_subb_co_u32_e64 v11, s[2:3], v11, v15, vcc
	v_subrev_co_u32_e64 v14, s[2:3], s38, v8
	v_subbrev_co_u32_e64 v11, s[2:3], 0, v11, s[2:3]
	v_cmp_le_u32_e64 s[2:3], s39, v11
	v_cndmask_b32_e64 v15, 0, -1, s[2:3]
	v_cmp_le_u32_e64 s[2:3], s38, v14
	v_cndmask_b32_e64 v14, 0, -1, s[2:3]
	v_cmp_eq_u32_e64 s[2:3], s39, v11
	v_cndmask_b32_e64 v11, v15, v14, s[2:3]
	v_add_co_u32_e64 v14, s[2:3], 2, v3
	v_subb_co_u32_e32 v9, vcc, v13, v9, vcc
	v_addc_co_u32_e64 v15, s[2:3], 0, v10, s[2:3]
	v_cmp_le_u32_e32 vcc, s39, v9
	v_add_co_u32_e64 v16, s[2:3], 1, v3
	v_cndmask_b32_e64 v13, 0, -1, vcc
	v_cmp_le_u32_e32 vcc, s38, v8
	v_addc_co_u32_e64 v17, s[2:3], 0, v10, s[2:3]
	v_cndmask_b32_e64 v8, 0, -1, vcc
	v_cmp_eq_u32_e32 vcc, s39, v9
	v_cmp_ne_u32_e64 s[2:3], 0, v11
	v_cndmask_b32_e32 v8, v13, v8, vcc
	v_cmp_ne_u32_e32 vcc, 0, v8
	v_cndmask_b32_e64 v9, v16, v14, s[2:3]
	v_cndmask_b32_e64 v11, v17, v15, s[2:3]
	v_cndmask_b32_e32 v3, v3, v9, vcc
	v_xor_b32_e32 v9, s36, v12
	v_cndmask_b32_e32 v8, v10, v11, vcc
	v_xor_b32_e32 v3, v3, v9
	v_xor_b32_e32 v10, v8, v9
	v_sub_co_u32_e32 v8, vcc, v3, v9
	v_subb_co_u32_e32 v9, vcc, v10, v9, vcc
.LBB69_7:                               ;   in Loop: Header=BB69_5 Depth=2
	s_andn2_saveexec_b64 s[2:3], s[34:35]
	s_cbranch_execz .LBB69_9
; %bb.8:                                ;   in Loop: Header=BB69_5 Depth=2
	v_cvt_f32_u32_e32 v3, s30
	s_sub_i32 s34, 0, s30
	v_rcp_iflag_f32_e32 v3, v3
	v_mul_f32_e32 v3, 0x4f7ffffe, v3
	v_cvt_u32_f32_e32 v3, v3
	v_mul_lo_u32 v8, s34, v3
	v_mul_hi_u32 v8, v3, v8
	v_add_u32_e32 v3, v3, v8
	v_mul_hi_u32 v3, v6, v3
	v_mul_lo_u32 v8, v3, s30
	v_sub_u32_e32 v8, v6, v8
	v_add_u32_e32 v9, 1, v3
	v_subrev_u32_e32 v10, s30, v8
	v_cmp_le_u32_e32 vcc, s30, v8
	v_cndmask_b32_e32 v8, v8, v10, vcc
	v_cndmask_b32_e32 v3, v3, v9, vcc
	v_add_u32_e32 v9, 1, v3
	v_cmp_le_u32_e32 vcc, s30, v8
	v_cndmask_b32_e32 v8, v3, v9, vcc
	v_mov_b32_e32 v9, v2
.LBB69_9:                               ;   in Loop: Header=BB69_5 Depth=2
	s_or_b64 exec, exec, s[2:3]
	v_mad_u64_u32 v[10:11], s[2:3], v8, s30, 0
	s_load_dwordx2 s[2:3], s[28:29], 0xc8
	v_mul_lo_u32 v3, v9, s30
	v_mul_lo_u32 v12, v8, s31
	v_add3_u32 v3, v11, v12, v3
	v_sub_co_u32_e32 v6, vcc, v6, v10
	s_add_i32 s44, s44, -1
	v_subb_co_u32_e32 v3, vcc, v7, v3, vcc
	s_add_u32 s28, s28, -8
	s_waitcnt lgkmcnt(0)
	v_mul_lo_u32 v3, s2, v3
	v_mul_lo_u32 v7, s3, v6
	v_mad_u64_u32 v[4:5], s[2:3], s2, v6, v[4:5]
	s_addc_u32 s29, s29, -1
	s_cmp_gt_u32 s44, 2
	v_add3_u32 v5, v7, v5, v3
	s_cbranch_scc0 .LBB69_11
; %bb.10:                               ;   in Loop: Header=BB69_5 Depth=2
	v_pk_mov_b32 v[6:7], v[8:9], v[8:9] op_sel:[0,1]
	s_branch .LBB69_5
.LBB69_11:                              ;   in Loop: Header=BB69_4 Depth=1
	s_waitcnt lgkmcnt(0)
	v_mul_lo_u32 v3, s23, v8
	v_mul_lo_u32 v9, s22, v9
	v_mad_u64_u32 v[6:7], s[2:3], s22, v8, 0
	v_add3_u32 v7, v7, v9, v3
	v_lshlrev_b64 v[6:7], 2, v[6:7]
	v_mov_b32_e32 v3, s25
	v_add_co_u32_e32 v6, vcc, s24, v6
	v_addc_co_u32_e32 v3, vcc, v3, v7, vcc
	v_lshlrev_b64 v[4:5], 2, v[4:5]
	v_add_co_u32_e32 v4, vcc, v6, v4
	v_addc_co_u32_e32 v5, vcc, v3, v5, vcc
	global_load_dword v4, v[4:5], off
	s_waitcnt vmcnt(0)
	v_ashrrev_i32_e32 v5, 31, v4
	v_cmp_le_i64_e32 vcc, s[10:11], v[4:5]
	v_cmp_ge_i64_e64 s[2:3], s[12:13], v[4:5]
	s_and_b64 s[2:3], vcc, s[2:3]
	s_and_saveexec_b64 s[28:29], s[2:3]
	s_cbranch_execz .LBB69_3
; %bb.12:                               ;   in Loop: Header=BB69_4 Depth=1
	v_mov_b32_e32 v3, s11
	v_subrev_co_u32_e32 v4, vcc, s10, v4
	v_subb_co_u32_e32 v3, vcc, v5, v3, vcc
	v_mul_lo_u32 v3, v3, s8
	v_mul_lo_u32 v6, v4, s9
	v_mad_u64_u32 v[4:5], s[2:3], v4, s8, 0
	v_add3_u32 v5, v5, v6, v3
	v_or_b32_e32 v3, s40, v5
	v_cmp_ne_u64_e32 vcc, 0, v[2:3]
                                        ; implicit-def: $vgpr6_vgpr7
	s_and_saveexec_b64 s[2:3], vcc
	s_xor_b64 s[30:31], exec, s[2:3]
	s_cbranch_execz .LBB69_14
; %bb.13:                               ;   in Loop: Header=BB69_4 Depth=1
	s_ashr_i32 s34, s40, 31
	s_add_u32 s2, s33, s34
	s_mov_b32 s35, s34
	s_addc_u32 s3, s40, s34
	s_xor_b64 s[36:37], s[2:3], s[34:35]
	v_cvt_f32_u32_e32 v3, s36
	v_cvt_f32_u32_e32 v6, s37
	s_sub_u32 s2, 0, s36
	s_subb_u32 s3, 0, s37
	v_mac_f32_e32 v3, 0x4f800000, v6
	v_rcp_f32_e32 v3, v3
	v_mul_f32_e32 v3, 0x5f7ffffc, v3
	v_mul_f32_e32 v6, 0x2f800000, v3
	v_trunc_f32_e32 v6, v6
	v_mac_f32_e32 v3, 0xcf800000, v6
	v_cvt_u32_f32_e32 v6, v6
	v_cvt_u32_f32_e32 v3, v3
	v_mul_lo_u32 v7, s2, v6
	v_mul_hi_u32 v9, s2, v3
	v_mul_lo_u32 v8, s3, v3
	v_add_u32_e32 v7, v9, v7
	v_mul_lo_u32 v10, s2, v3
	v_add_u32_e32 v7, v7, v8
	v_mul_lo_u32 v9, v3, v7
	v_mul_hi_u32 v11, v3, v10
	v_mul_hi_u32 v8, v3, v7
	v_add_co_u32_e32 v9, vcc, v11, v9
	v_addc_co_u32_e32 v8, vcc, 0, v8, vcc
	v_mul_hi_u32 v12, v6, v10
	v_mul_lo_u32 v10, v6, v10
	v_add_co_u32_e32 v9, vcc, v9, v10
	v_mul_hi_u32 v11, v6, v7
	v_addc_co_u32_e32 v8, vcc, v8, v12, vcc
	v_addc_co_u32_e32 v9, vcc, 0, v11, vcc
	v_mul_lo_u32 v7, v6, v7
	v_add_co_u32_e32 v7, vcc, v8, v7
	v_addc_co_u32_e32 v8, vcc, 0, v9, vcc
	v_add_co_u32_e32 v3, vcc, v3, v7
	v_addc_co_u32_e32 v6, vcc, v6, v8, vcc
	v_mul_lo_u32 v7, s2, v6
	v_mul_hi_u32 v8, s2, v3
	v_add_u32_e32 v7, v8, v7
	v_mul_lo_u32 v8, s3, v3
	v_add_u32_e32 v7, v7, v8
	v_mul_lo_u32 v9, s2, v3
	v_mul_hi_u32 v10, v6, v9
	v_mul_lo_u32 v11, v6, v9
	v_mul_lo_u32 v13, v3, v7
	v_mul_hi_u32 v9, v3, v9
	v_mul_hi_u32 v12, v3, v7
	v_add_co_u32_e32 v9, vcc, v9, v13
	v_addc_co_u32_e32 v12, vcc, 0, v12, vcc
	v_add_co_u32_e32 v9, vcc, v9, v11
	v_mul_hi_u32 v8, v6, v7
	v_addc_co_u32_e32 v9, vcc, v12, v10, vcc
	v_addc_co_u32_e32 v8, vcc, 0, v8, vcc
	v_mul_lo_u32 v7, v6, v7
	v_add_co_u32_e32 v7, vcc, v9, v7
	v_addc_co_u32_e32 v8, vcc, 0, v8, vcc
	v_add_co_u32_e32 v3, vcc, v3, v7
	v_addc_co_u32_e32 v6, vcc, v6, v8, vcc
	v_ashrrev_i32_e32 v8, 31, v5
	v_add_co_u32_e32 v4, vcc, v4, v8
	v_addc_co_u32_e32 v5, vcc, v5, v8, vcc
	v_xor_b32_e32 v10, v4, v8
	v_xor_b32_e32 v9, v5, v8
	v_mad_u64_u32 v[4:5], s[2:3], v10, v6, 0
	v_mul_hi_u32 v7, v10, v3
	v_add_co_u32_e32 v11, vcc, v7, v4
	v_addc_co_u32_e32 v12, vcc, 0, v5, vcc
	v_mad_u64_u32 v[4:5], s[2:3], v9, v6, 0
	v_mad_u64_u32 v[6:7], s[2:3], v9, v3, 0
	v_add_co_u32_e32 v3, vcc, v11, v6
	v_addc_co_u32_e32 v3, vcc, v12, v7, vcc
	v_addc_co_u32_e32 v5, vcc, 0, v5, vcc
	v_add_co_u32_e32 v3, vcc, v3, v4
	v_addc_co_u32_e32 v4, vcc, 0, v5, vcc
	v_mul_lo_u32 v6, s37, v3
	v_mul_lo_u32 v7, s36, v4
	v_mad_u64_u32 v[4:5], s[2:3], s36, v3, 0
	v_add3_u32 v5, v5, v7, v6
	v_sub_u32_e32 v6, v9, v5
	v_mov_b32_e32 v7, s37
	v_sub_co_u32_e32 v4, vcc, v10, v4
	v_subb_co_u32_e64 v6, s[2:3], v6, v7, vcc
	v_subrev_co_u32_e64 v7, s[2:3], s36, v4
	v_subbrev_co_u32_e64 v6, s[2:3], 0, v6, s[2:3]
	v_cmp_le_u32_e64 s[2:3], s37, v6
	v_subb_co_u32_e32 v5, vcc, v9, v5, vcc
	v_cndmask_b32_e64 v10, 0, -1, s[2:3]
	v_cmp_le_u32_e64 s[2:3], s36, v7
	v_cmp_le_u32_e32 vcc, s37, v5
	v_cndmask_b32_e64 v7, 0, -1, s[2:3]
	v_cmp_eq_u32_e64 s[2:3], s37, v6
	v_cndmask_b32_e64 v9, 0, -1, vcc
	v_cmp_le_u32_e32 vcc, s36, v4
	v_cndmask_b32_e64 v6, v10, v7, s[2:3]
	v_cndmask_b32_e64 v4, 0, -1, vcc
	v_cmp_eq_u32_e32 vcc, s37, v5
	v_add_co_u32_e64 v7, s[2:3], 2, v3
	v_add_co_u32_e64 v10, s[2:3], 1, v3
	v_cndmask_b32_e32 v4, v9, v4, vcc
	v_cmp_ne_u32_e32 vcc, 0, v6
	v_cndmask_b32_e32 v5, v10, v7, vcc
	v_cmp_ne_u32_e32 vcc, 0, v4
	v_cndmask_b32_e32 v3, v3, v5, vcc
	v_xor_b32_e32 v4, s34, v8
	v_xor_b32_e32 v3, v3, v4
	v_sub_co_u32_e32 v6, vcc, v3, v4
                                        ; implicit-def: $vgpr4_vgpr5
.LBB69_14:                              ;   in Loop: Header=BB69_4 Depth=1
	s_andn2_saveexec_b64 s[2:3], s[30:31]
	s_cbranch_execz .LBB69_2
; %bb.15:                               ;   in Loop: Header=BB69_4 Depth=1
	v_cvt_f32_u32_e32 v3, s33
	s_sub_i32 s30, 0, s33
	v_rcp_iflag_f32_e32 v3, v3
	v_mul_f32_e32 v3, 0x4f7ffffe, v3
	v_cvt_u32_f32_e32 v3, v3
	v_mul_lo_u32 v5, s30, v3
	v_mul_hi_u32 v5, v3, v5
	v_add_u32_e32 v3, v3, v5
	v_mul_hi_u32 v3, v4, v3
	v_mul_lo_u32 v5, v3, s33
	v_sub_u32_e32 v4, v4, v5
	v_add_u32_e32 v6, 1, v3
	v_subrev_u32_e32 v5, s33, v4
	v_cmp_le_u32_e32 vcc, s33, v4
	v_cndmask_b32_e32 v4, v4, v5, vcc
	v_cndmask_b32_e32 v3, v3, v6, vcc
	v_add_u32_e32 v5, 1, v3
	v_cmp_le_u32_e32 vcc, s33, v4
	v_cndmask_b32_e32 v6, v3, v5, vcc
	s_branch .LBB69_2
.LBB69_16:
	s_endpgm
	.section	.rodata,"a",@progbits
	.p2align	6, 0x0
	.amdhsa_kernel _ZN2at4cuda17kernelHistogram1DIiilLi1ELi2ELin1ELNS0_23CUDAHistogramMemoryTypeE1EZNS0_21CUDA_tensor_histogramIiiLb0EEEbNS_6TensorES4_S4_lNS_14AccumulateTypeIT0_Lb1EE4typeES8_NS0_13TensorArgTypeES9_S9_EUllE_EEvNS0_6detail10TensorInfoIT_T1_EESF_NSC_IKS6_SE_EElS8_S8_SE_T6_
		.amdhsa_group_segment_fixed_size 0
		.amdhsa_private_segment_fixed_size 0
		.amdhsa_kernarg_size 1952
		.amdhsa_user_sgpr_count 6
		.amdhsa_user_sgpr_private_segment_buffer 1
		.amdhsa_user_sgpr_dispatch_ptr 0
		.amdhsa_user_sgpr_queue_ptr 0
		.amdhsa_user_sgpr_kernarg_segment_ptr 1
		.amdhsa_user_sgpr_dispatch_id 0
		.amdhsa_user_sgpr_flat_scratch_init 0
		.amdhsa_user_sgpr_kernarg_preload_length 0
		.amdhsa_user_sgpr_kernarg_preload_offset 0
		.amdhsa_user_sgpr_private_segment_size 0
		.amdhsa_uses_dynamic_stack 0
		.amdhsa_system_sgpr_private_segment_wavefront_offset 0
		.amdhsa_system_sgpr_workgroup_id_x 1
		.amdhsa_system_sgpr_workgroup_id_y 0
		.amdhsa_system_sgpr_workgroup_id_z 0
		.amdhsa_system_sgpr_workgroup_info 0
		.amdhsa_system_vgpr_workitem_id 0
		.amdhsa_next_free_vgpr 18
		.amdhsa_next_free_sgpr 45
		.amdhsa_accum_offset 20
		.amdhsa_reserve_vcc 1
		.amdhsa_reserve_flat_scratch 0
		.amdhsa_float_round_mode_32 0
		.amdhsa_float_round_mode_16_64 0
		.amdhsa_float_denorm_mode_32 3
		.amdhsa_float_denorm_mode_16_64 3
		.amdhsa_dx10_clamp 1
		.amdhsa_ieee_mode 1
		.amdhsa_fp16_overflow 0
		.amdhsa_tg_split 0
		.amdhsa_exception_fp_ieee_invalid_op 0
		.amdhsa_exception_fp_denorm_src 0
		.amdhsa_exception_fp_ieee_div_zero 0
		.amdhsa_exception_fp_ieee_overflow 0
		.amdhsa_exception_fp_ieee_underflow 0
		.amdhsa_exception_fp_ieee_inexact 0
		.amdhsa_exception_int_div_zero 0
	.end_amdhsa_kernel
	.section	.text._ZN2at4cuda17kernelHistogram1DIiilLi1ELi2ELin1ELNS0_23CUDAHistogramMemoryTypeE1EZNS0_21CUDA_tensor_histogramIiiLb0EEEbNS_6TensorES4_S4_lNS_14AccumulateTypeIT0_Lb1EE4typeES8_NS0_13TensorArgTypeES9_S9_EUllE_EEvNS0_6detail10TensorInfoIT_T1_EESF_NSC_IKS6_SE_EElS8_S8_SE_T6_,"axG",@progbits,_ZN2at4cuda17kernelHistogram1DIiilLi1ELi2ELin1ELNS0_23CUDAHistogramMemoryTypeE1EZNS0_21CUDA_tensor_histogramIiiLb0EEEbNS_6TensorES4_S4_lNS_14AccumulateTypeIT0_Lb1EE4typeES8_NS0_13TensorArgTypeES9_S9_EUllE_EEvNS0_6detail10TensorInfoIT_T1_EESF_NSC_IKS6_SE_EElS8_S8_SE_T6_,comdat
.Lfunc_end69:
	.size	_ZN2at4cuda17kernelHistogram1DIiilLi1ELi2ELin1ELNS0_23CUDAHistogramMemoryTypeE1EZNS0_21CUDA_tensor_histogramIiiLb0EEEbNS_6TensorES4_S4_lNS_14AccumulateTypeIT0_Lb1EE4typeES8_NS0_13TensorArgTypeES9_S9_EUllE_EEvNS0_6detail10TensorInfoIT_T1_EESF_NSC_IKS6_SE_EElS8_S8_SE_T6_, .Lfunc_end69-_ZN2at4cuda17kernelHistogram1DIiilLi1ELi2ELin1ELNS0_23CUDAHistogramMemoryTypeE1EZNS0_21CUDA_tensor_histogramIiiLb0EEEbNS_6TensorES4_S4_lNS_14AccumulateTypeIT0_Lb1EE4typeES8_NS0_13TensorArgTypeES9_S9_EUllE_EEvNS0_6detail10TensorInfoIT_T1_EESF_NSC_IKS6_SE_EElS8_S8_SE_T6_
                                        ; -- End function
	.section	.AMDGPU.csdata,"",@progbits
; Kernel info:
; codeLenInByte = 2292
; NumSgprs: 49
; NumVgprs: 18
; NumAgprs: 0
; TotalNumVgprs: 18
; ScratchSize: 0
; MemoryBound: 0
; FloatMode: 240
; IeeeMode: 1
; LDSByteSize: 0 bytes/workgroup (compile time only)
; SGPRBlocks: 6
; VGPRBlocks: 2
; NumSGPRsForWavesPerEU: 49
; NumVGPRsForWavesPerEU: 18
; AccumOffset: 20
; Occupancy: 8
; WaveLimiterHint : 1
; COMPUTE_PGM_RSRC2:SCRATCH_EN: 0
; COMPUTE_PGM_RSRC2:USER_SGPR: 6
; COMPUTE_PGM_RSRC2:TRAP_HANDLER: 0
; COMPUTE_PGM_RSRC2:TGID_X_EN: 1
; COMPUTE_PGM_RSRC2:TGID_Y_EN: 0
; COMPUTE_PGM_RSRC2:TGID_Z_EN: 0
; COMPUTE_PGM_RSRC2:TIDIG_COMP_CNT: 0
; COMPUTE_PGM_RSRC3_GFX90A:ACCUM_OFFSET: 4
; COMPUTE_PGM_RSRC3_GFX90A:TG_SPLIT: 0
	.section	.text._ZN2at4cuda17kernelHistogram1DIiilLi1ELi2ELin1ELNS0_23CUDAHistogramMemoryTypeE0EZNS0_21CUDA_tensor_histogramIiiLb0EEEbNS_6TensorES4_S4_lNS_14AccumulateTypeIT0_Lb1EE4typeES8_NS0_13TensorArgTypeES9_S9_EUllE0_EEvNS0_6detail10TensorInfoIT_T1_EESF_NSC_IKS6_SE_EElS8_S8_SE_T6_,"axG",@progbits,_ZN2at4cuda17kernelHistogram1DIiilLi1ELi2ELin1ELNS0_23CUDAHistogramMemoryTypeE0EZNS0_21CUDA_tensor_histogramIiiLb0EEEbNS_6TensorES4_S4_lNS_14AccumulateTypeIT0_Lb1EE4typeES8_NS0_13TensorArgTypeES9_S9_EUllE0_EEvNS0_6detail10TensorInfoIT_T1_EESF_NSC_IKS6_SE_EElS8_S8_SE_T6_,comdat
	.protected	_ZN2at4cuda17kernelHistogram1DIiilLi1ELi2ELin1ELNS0_23CUDAHistogramMemoryTypeE0EZNS0_21CUDA_tensor_histogramIiiLb0EEEbNS_6TensorES4_S4_lNS_14AccumulateTypeIT0_Lb1EE4typeES8_NS0_13TensorArgTypeES9_S9_EUllE0_EEvNS0_6detail10TensorInfoIT_T1_EESF_NSC_IKS6_SE_EElS8_S8_SE_T6_ ; -- Begin function _ZN2at4cuda17kernelHistogram1DIiilLi1ELi2ELin1ELNS0_23CUDAHistogramMemoryTypeE0EZNS0_21CUDA_tensor_histogramIiiLb0EEEbNS_6TensorES4_S4_lNS_14AccumulateTypeIT0_Lb1EE4typeES8_NS0_13TensorArgTypeES9_S9_EUllE0_EEvNS0_6detail10TensorInfoIT_T1_EESF_NSC_IKS6_SE_EElS8_S8_SE_T6_
	.globl	_ZN2at4cuda17kernelHistogram1DIiilLi1ELi2ELin1ELNS0_23CUDAHistogramMemoryTypeE0EZNS0_21CUDA_tensor_histogramIiiLb0EEEbNS_6TensorES4_S4_lNS_14AccumulateTypeIT0_Lb1EE4typeES8_NS0_13TensorArgTypeES9_S9_EUllE0_EEvNS0_6detail10TensorInfoIT_T1_EESF_NSC_IKS6_SE_EElS8_S8_SE_T6_
	.p2align	8
	.type	_ZN2at4cuda17kernelHistogram1DIiilLi1ELi2ELin1ELNS0_23CUDAHistogramMemoryTypeE0EZNS0_21CUDA_tensor_histogramIiiLb0EEEbNS_6TensorES4_S4_lNS_14AccumulateTypeIT0_Lb1EE4typeES8_NS0_13TensorArgTypeES9_S9_EUllE0_EEvNS0_6detail10TensorInfoIT_T1_EESF_NSC_IKS6_SE_EElS8_S8_SE_T6_,@function
_ZN2at4cuda17kernelHistogram1DIiilLi1ELi2ELin1ELNS0_23CUDAHistogramMemoryTypeE0EZNS0_21CUDA_tensor_histogramIiiLb0EEEbNS_6TensorES4_S4_lNS_14AccumulateTypeIT0_Lb1EE4typeES8_NS0_13TensorArgTypeES9_S9_EUllE0_EEvNS0_6detail10TensorInfoIT_T1_EESF_NSC_IKS6_SE_EElS8_S8_SE_T6_: ; @_ZN2at4cuda17kernelHistogram1DIiilLi1ELi2ELin1ELNS0_23CUDAHistogramMemoryTypeE0EZNS0_21CUDA_tensor_histogramIiiLb0EEEbNS_6TensorES4_S4_lNS_14AccumulateTypeIT0_Lb1EE4typeES8_NS0_13TensorArgTypeES9_S9_EUllE0_EEvNS0_6detail10TensorInfoIT_T1_EESF_NSC_IKS6_SE_EElS8_S8_SE_T6_
; %bb.0:
	s_load_dwordx4 s[16:19], s[4:5], 0x0
	v_mov_b32_e32 v1, 0
	s_add_u32 s22, s4, 0x508
	s_addc_u32 s23, s5, 0
                                        ; implicit-def: $sgpr7
	s_waitcnt lgkmcnt(0)
	v_cmp_gt_i64_e64 s[0:1], s[18:19], v[0:1]
	v_cmp_le_i64_e32 vcc, s[18:19], v[0:1]
	s_and_saveexec_b64 s[2:3], vcc
	s_xor_b64 s[2:3], exec, s[2:3]
	s_cbranch_execz .LBB70_2
; %bb.1:
	s_load_dword s7, s[22:23], 0xc
.LBB70_2:
	s_or_saveexec_b64 s[8:9], s[2:3]
	s_load_dwordx2 s[20:21], s[4:5], 0xd0
	s_waitcnt lgkmcnt(0)
	v_mov_b32_e32 v4, s7
	s_xor_b64 exec, exec, s[8:9]
	s_cbranch_execz .LBB70_16
; %bb.3:
	s_load_dword s7, s[22:23], 0xc
	v_mov_b32_e32 v2, s19
	s_mov_b32 s13, 0
	s_waitcnt lgkmcnt(0)
	s_and_b32 s12, s7, 0xffff
	v_add_co_u32_e32 v4, vcc, s12, v0
	v_addc_co_u32_e64 v5, s[2:3], 0, 0, vcc
	v_cmp_gt_i64_e32 vcc, s[18:19], v[4:5]
	v_cndmask_b32_e32 v6, v5, v2, vcc
	v_mov_b32_e32 v2, s18
	v_cndmask_b32_e32 v3, v4, v2, vcc
	v_cndmask_b32_e64 v2, 0, 1, vcc
	v_add_co_u32_e32 v4, vcc, v4, v2
	v_addc_co_u32_e32 v5, vcc, 0, v5, vcc
	v_sub_co_u32_e32 v3, vcc, v3, v4
	v_subb_co_u32_e32 v5, vcc, v6, v5, vcc
	v_mov_b32_e32 v4, 0
	v_cmp_ne_u64_e32 vcc, 0, v[4:5]
                                        ; implicit-def: $vgpr6_vgpr7
	s_and_saveexec_b64 s[2:3], vcc
	s_xor_b64 s[10:11], exec, s[2:3]
	s_cbranch_execz .LBB70_5
; %bb.4:
	v_cvt_f32_u32_e32 v4, s12
	v_mov_b32_e32 v6, 0x4f800000
	s_sub_u32 s2, 0, s12
	s_subb_u32 s3, 0, 0
	v_mac_f32_e32 v4, 0, v6
	v_rcp_f32_e32 v4, v4
	v_mul_f32_e32 v4, 0x5f7ffffc, v4
	v_mul_f32_e32 v6, 0x2f800000, v4
	v_trunc_f32_e32 v6, v6
	v_madmk_f32 v4, v6, 0xcf800000, v4
	v_cvt_u32_f32_e32 v6, v6
	v_cvt_u32_f32_e32 v4, v4
	v_mul_lo_u32 v7, s2, v6
	v_mul_hi_u32 v9, s2, v4
	v_mul_lo_u32 v8, s3, v4
	v_add_u32_e32 v7, v9, v7
	v_mul_lo_u32 v10, s2, v4
	v_add_u32_e32 v7, v7, v8
	v_mul_hi_u32 v9, v4, v10
	v_mul_lo_u32 v11, v4, v7
	v_mul_hi_u32 v8, v4, v7
	v_add_co_u32_e32 v9, vcc, v9, v11
	v_addc_co_u32_e32 v8, vcc, 0, v8, vcc
	v_mul_hi_u32 v12, v6, v10
	v_mul_lo_u32 v10, v6, v10
	v_add_co_u32_e32 v9, vcc, v9, v10
	v_mul_hi_u32 v11, v6, v7
	v_addc_co_u32_e32 v8, vcc, v8, v12, vcc
	v_addc_co_u32_e32 v9, vcc, 0, v11, vcc
	v_mul_lo_u32 v7, v6, v7
	v_add_co_u32_e32 v7, vcc, v8, v7
	v_addc_co_u32_e32 v8, vcc, 0, v9, vcc
	v_add_co_u32_e32 v4, vcc, v4, v7
	v_addc_co_u32_e32 v6, vcc, v6, v8, vcc
	v_mul_lo_u32 v7, s2, v6
	v_mul_hi_u32 v8, s2, v4
	v_add_u32_e32 v7, v8, v7
	v_mul_lo_u32 v8, s3, v4
	v_add_u32_e32 v7, v7, v8
	v_mul_lo_u32 v9, s2, v4
	v_mul_hi_u32 v10, v6, v9
	v_mul_lo_u32 v11, v6, v9
	v_mul_lo_u32 v13, v4, v7
	v_mul_hi_u32 v9, v4, v9
	v_mul_hi_u32 v12, v4, v7
	v_add_co_u32_e32 v9, vcc, v9, v13
	v_addc_co_u32_e32 v12, vcc, 0, v12, vcc
	v_add_co_u32_e32 v9, vcc, v9, v11
	v_mul_hi_u32 v8, v6, v7
	v_addc_co_u32_e32 v9, vcc, v12, v10, vcc
	v_addc_co_u32_e32 v8, vcc, 0, v8, vcc
	v_mul_lo_u32 v7, v6, v7
	v_add_co_u32_e32 v7, vcc, v9, v7
	v_addc_co_u32_e32 v8, vcc, 0, v8, vcc
	v_add_co_u32_e32 v4, vcc, v4, v7
	v_addc_co_u32_e32 v8, vcc, v6, v8, vcc
	v_mad_u64_u32 v[6:7], s[2:3], v3, v8, 0
	v_mul_hi_u32 v9, v3, v4
	v_add_co_u32_e32 v10, vcc, v9, v6
	v_addc_co_u32_e32 v11, vcc, 0, v7, vcc
	v_mad_u64_u32 v[6:7], s[2:3], v5, v8, 0
	v_mad_u64_u32 v[8:9], s[2:3], v5, v4, 0
	v_add_co_u32_e32 v4, vcc, v10, v8
	v_addc_co_u32_e32 v4, vcc, v11, v9, vcc
	v_addc_co_u32_e32 v7, vcc, 0, v7, vcc
	v_add_co_u32_e32 v10, vcc, v4, v6
	v_addc_co_u32_e32 v11, vcc, 0, v7, vcc
	v_mad_u64_u32 v[6:7], s[2:3], s12, v10, 0
	v_mov_b32_e32 v4, v7
	v_mad_u64_u32 v[8:9], s[2:3], s12, v11, v[4:5]
	v_sub_co_u32_e32 v3, vcc, v3, v6
	v_subb_co_u32_e32 v4, vcc, v5, v8, vcc
	v_subrev_co_u32_e32 v5, vcc, s12, v3
	v_subbrev_co_u32_e32 v6, vcc, 0, v4, vcc
	v_cmp_le_u32_e32 vcc, s12, v5
	v_cndmask_b32_e64 v5, 0, -1, vcc
	v_cmp_eq_u32_e32 vcc, 0, v6
	v_cndmask_b32_e32 v5, -1, v5, vcc
	v_add_co_u32_e32 v6, vcc, 2, v10
	v_addc_co_u32_e32 v7, vcc, 0, v11, vcc
	v_add_co_u32_e32 v8, vcc, 1, v10
	v_cmp_le_u32_e64 s[2:3], s12, v3
	v_addc_co_u32_e32 v9, vcc, 0, v11, vcc
	v_cndmask_b32_e64 v3, 0, -1, s[2:3]
	v_cmp_eq_u32_e64 s[2:3], 0, v4
	v_cmp_ne_u32_e32 vcc, 0, v5
	v_cndmask_b32_e64 v3, -1, v3, s[2:3]
	v_cndmask_b32_e32 v5, v9, v7, vcc
	v_cmp_ne_u32_e64 s[2:3], 0, v3
	v_cndmask_b32_e32 v3, v8, v6, vcc
	v_cndmask_b32_e64 v7, v11, v5, s[2:3]
	v_cndmask_b32_e64 v6, v10, v3, s[2:3]
                                        ; implicit-def: $vgpr3
.LBB70_5:
	s_andn2_saveexec_b64 s[2:3], s[10:11]
	s_cbranch_execz .LBB70_7
; %bb.6:
	v_cvt_f32_u32_e32 v4, s12
	s_sub_i32 s10, 0, s12
	v_mov_b32_e32 v7, 0
	v_rcp_iflag_f32_e32 v4, v4
	v_mul_f32_e32 v4, 0x4f7ffffe, v4
	v_cvt_u32_f32_e32 v4, v4
	v_mul_lo_u32 v5, s10, v4
	v_mul_hi_u32 v5, v4, v5
	v_add_u32_e32 v4, v4, v5
	v_mul_hi_u32 v4, v3, v4
	v_mul_lo_u32 v5, v4, s12
	v_sub_u32_e32 v3, v3, v5
	v_add_u32_e32 v6, 1, v4
	v_subrev_u32_e32 v5, s12, v3
	v_cmp_le_u32_e32 vcc, s12, v3
	v_cndmask_b32_e32 v3, v3, v5, vcc
	v_cndmask_b32_e32 v4, v4, v6, vcc
	v_add_u32_e32 v5, 1, v4
	v_cmp_le_u32_e32 vcc, s12, v3
	v_cndmask_b32_e32 v6, v4, v5, vcc
.LBB70_7:
	s_or_b64 exec, exec, s[2:3]
	v_add_co_u32_e32 v2, vcc, v6, v2
	v_addc_co_u32_e32 v3, vcc, 0, v7, vcc
	v_add_co_u32_e32 v4, vcc, 1, v2
	v_addc_co_u32_e32 v5, vcc, 0, v3, vcc
	v_cmp_lt_u64_e32 vcc, 1, v[4:5]
	v_cmp_eq_u16_e64 s[2:3], s7, 1
	s_and_b64 s[24:25], vcc, s[2:3]
	s_mov_b64 s[10:11], -1
	v_pk_mov_b32 v[2:3], v[0:1], v[0:1] op_sel:[0,1]
                                        ; implicit-def: $sgpr14
	s_and_saveexec_b64 s[2:3], s[24:25]
	s_cbranch_execz .LBB70_11
; %bb.8:
	v_and_b32_e32 v6, -2, v4
	v_mov_b32_e32 v7, v5
	v_lshl_add_u32 v8, v0, 2, 0
	s_mov_b64 s[10:11], 0
	v_mov_b32_e32 v9, 0
	v_pk_mov_b32 v[2:3], v[6:7], v[6:7] op_sel:[0,1]
.LBB70_9:                               ; =>This Inner Loop Header: Depth=1
	v_add_co_u32_e32 v2, vcc, -2, v2
	v_addc_co_u32_e32 v3, vcc, -1, v3, vcc
	v_cmp_eq_u64_e32 vcc, 0, v[2:3]
	ds_write2_b32 v8, v9, v9 offset1:1
	s_or_b64 s[10:11], vcc, s[10:11]
	v_add_u32_e32 v8, 8, v8
	s_andn2_b64 exec, exec, s[10:11]
	s_cbranch_execnz .LBB70_9
; %bb.10:
	s_or_b64 exec, exec, s[10:11]
	v_mad_u64_u32 v[2:3], s[10:11], v6, s12, v[0:1]
	v_mov_b32_e32 v8, v3
	v_mad_u64_u32 v[8:9], s[10:11], v7, s12, v[8:9]
	v_cmp_ne_u64_e32 vcc, v[4:5], v[6:7]
	v_mov_b32_e32 v3, v8
	s_mov_b32 s14, 1
	s_orn2_b64 s[10:11], vcc, exec
.LBB70_11:
	s_or_b64 exec, exec, s[2:3]
	v_mov_b32_e32 v4, s14
	s_and_saveexec_b64 s[2:3], s[10:11]
	s_cbranch_execz .LBB70_15
; %bb.12:
	v_lshl_add_u32 v4, v2, 2, 0
	s_lshl_b32 s14, s12, 2
	s_mov_b64 s[10:11], 0
	v_mov_b32_e32 v5, 0
	v_mov_b32_e32 v6, s13
.LBB70_13:                              ; =>This Inner Loop Header: Depth=1
	v_add_co_u32_e32 v2, vcc, s12, v2
	v_addc_co_u32_e32 v3, vcc, v3, v6, vcc
	v_cmp_le_i64_e32 vcc, s[18:19], v[2:3]
	ds_write_b32 v4, v5
	s_or_b64 s[10:11], vcc, s[10:11]
	v_add_u32_e32 v4, s14, v4
	s_andn2_b64 exec, exec, s[10:11]
	s_cbranch_execnz .LBB70_13
; %bb.14:
	s_or_b64 exec, exec, s[10:11]
	v_mov_b32_e32 v4, s7
.LBB70_15:
	s_or_b64 exec, exec, s[2:3]
.LBB70_16:
	s_or_b64 exec, exec, s[8:9]
	s_load_dwordx8 s[8:15], s[4:5], 0x4e0
	v_and_b32_e32 v2, 0xffff, v4
	v_mad_u64_u32 v[4:5], s[2:3], s6, v2, v[0:1]
	v_mov_b32_e32 v6, 0
	v_mov_b32_e32 v5, v6
	s_waitcnt lgkmcnt(0)
	v_cmp_gt_i64_e32 vcc, s[14:15], v[4:5]
	s_barrier
	s_waitcnt lgkmcnt(0)
                                        ; kill: def $vgpr3 killed $sgpr0 killed $exec
	s_and_saveexec_b64 s[6:7], vcc
	s_cbranch_execz .LBB70_32
; %bb.17:
	s_load_dword s26, s[4:5], 0x4d8
	s_add_u32 s27, s4, 0x340
	s_addc_u32 s29, s5, 0
	s_load_dword s28, s[22:23], 0x0
	s_load_dwordx2 s[24:25], s[4:5], 0x340
	s_waitcnt lgkmcnt(0)
	v_mul_lo_u32 v8, s28, v2
	s_load_dwordx2 s[22:23], s[4:5], 0x410
	s_cmp_gt_i32 s26, 1
	s_cselect_b64 s[2:3], -1, 0
	s_sub_u32 s33, s12, s10
	s_subb_u32 s42, s13, s11
	s_mov_b32 s5, 0
	s_add_i32 s4, s26, -1
	s_add_i32 s43, s26, 1
	s_lshl_b64 s[4:5], s[4:5], 3
	s_add_u32 s4, s4, s27
	s_addc_u32 s5, s5, s29
	s_add_u32 s26, s4, 8
	v_cndmask_b32_e64 v3, 0, 1, s[2:3]
	s_addc_u32 s27, s5, 0
	s_mov_b64 s[28:29], 0
	v_cmp_ne_u32_e64 s[2:3], 1, v3
	v_mov_b32_e32 v3, 1
	s_branch .LBB70_20
.LBB70_18:                              ;   in Loop: Header=BB70_20 Depth=1
	s_or_b64 exec, exec, s[4:5]
	v_ashrrev_i32_e32 v13, 31, v12
	v_cmp_eq_u64_e32 vcc, s[8:9], v[12:13]
	v_subbrev_co_u32_e32 v7, vcc, 0, v12, vcc
	v_lshl_add_u32 v7, v7, 2, 0
	ds_add_u32 v7, v3
.LBB70_19:                              ;   in Loop: Header=BB70_20 Depth=1
	s_or_b64 exec, exec, s[30:31]
	v_add_co_u32_e32 v4, vcc, v4, v8
	v_addc_co_u32_e32 v5, vcc, 0, v5, vcc
	v_cmp_le_i64_e32 vcc, s[14:15], v[4:5]
	s_or_b64 s[28:29], vcc, s[28:29]
	s_andn2_b64 exec, exec, s[28:29]
	s_cbranch_execz .LBB70_32
.LBB70_20:                              ; =>This Loop Header: Depth=1
                                        ;     Child Loop BB70_21 Depth 2
	s_and_b64 vcc, exec, s[2:3]
	v_pk_mov_b32 v[10:11], 0, 0
	s_mov_b64 s[30:31], s[26:27]
	s_mov_b32 s44, s43
	v_pk_mov_b32 v[12:13], v[4:5], v[4:5] op_sel:[0,1]
	v_pk_mov_b32 v[14:15], v[4:5], v[4:5] op_sel:[0,1]
	s_cbranch_vccnz .LBB70_27
.LBB70_21:                              ;   Parent Loop BB70_20 Depth=1
                                        ; =>  This Inner Loop Header: Depth=2
	s_load_dwordx2 s[34:35], s[30:31], 0x0
                                        ; implicit-def: $vgpr14_vgpr15
	s_waitcnt lgkmcnt(0)
	v_or_b32_e32 v7, s35, v13
	v_cmp_ne_u64_e32 vcc, 0, v[6:7]
	s_and_saveexec_b64 s[4:5], vcc
	s_xor_b64 s[36:37], exec, s[4:5]
	s_cbranch_execz .LBB70_23
; %bb.22:                               ;   in Loop: Header=BB70_21 Depth=2
	s_ashr_i32 s38, s35, 31
	s_add_u32 s4, s34, s38
	s_mov_b32 s39, s38
	s_addc_u32 s5, s35, s38
	s_xor_b64 s[40:41], s[4:5], s[38:39]
	v_cvt_f32_u32_e32 v7, s40
	v_cvt_f32_u32_e32 v9, s41
	s_sub_u32 s4, 0, s40
	s_subb_u32 s5, 0, s41
	v_mac_f32_e32 v7, 0x4f800000, v9
	v_rcp_f32_e32 v7, v7
	v_mul_f32_e32 v7, 0x5f7ffffc, v7
	v_mul_f32_e32 v9, 0x2f800000, v7
	v_trunc_f32_e32 v9, v9
	v_mac_f32_e32 v7, 0xcf800000, v9
	v_cvt_u32_f32_e32 v9, v9
	v_cvt_u32_f32_e32 v7, v7
	v_mul_lo_u32 v14, s4, v9
	v_mul_hi_u32 v16, s4, v7
	v_mul_lo_u32 v15, s5, v7
	v_add_u32_e32 v14, v16, v14
	v_mul_lo_u32 v17, s4, v7
	v_add_u32_e32 v14, v14, v15
	v_mul_lo_u32 v16, v7, v14
	v_mul_hi_u32 v18, v7, v17
	v_mul_hi_u32 v15, v7, v14
	v_add_co_u32_e32 v16, vcc, v18, v16
	v_addc_co_u32_e32 v15, vcc, 0, v15, vcc
	v_mul_hi_u32 v19, v9, v17
	v_mul_lo_u32 v17, v9, v17
	v_add_co_u32_e32 v16, vcc, v16, v17
	v_mul_hi_u32 v18, v9, v14
	v_addc_co_u32_e32 v15, vcc, v15, v19, vcc
	v_addc_co_u32_e32 v16, vcc, 0, v18, vcc
	v_mul_lo_u32 v14, v9, v14
	v_add_co_u32_e32 v14, vcc, v15, v14
	v_addc_co_u32_e32 v15, vcc, 0, v16, vcc
	v_add_co_u32_e32 v7, vcc, v7, v14
	v_addc_co_u32_e32 v9, vcc, v9, v15, vcc
	v_mul_lo_u32 v14, s4, v9
	v_mul_hi_u32 v15, s4, v7
	v_add_u32_e32 v14, v15, v14
	v_mul_lo_u32 v15, s5, v7
	v_add_u32_e32 v14, v14, v15
	v_mul_lo_u32 v16, s4, v7
	v_mul_hi_u32 v17, v9, v16
	v_mul_lo_u32 v18, v9, v16
	v_mul_lo_u32 v20, v7, v14
	v_mul_hi_u32 v16, v7, v16
	v_mul_hi_u32 v19, v7, v14
	v_add_co_u32_e32 v16, vcc, v16, v20
	v_addc_co_u32_e32 v19, vcc, 0, v19, vcc
	v_add_co_u32_e32 v16, vcc, v16, v18
	v_mul_hi_u32 v15, v9, v14
	v_addc_co_u32_e32 v16, vcc, v19, v17, vcc
	v_addc_co_u32_e32 v15, vcc, 0, v15, vcc
	v_mul_lo_u32 v14, v9, v14
	v_add_co_u32_e32 v14, vcc, v16, v14
	v_addc_co_u32_e32 v15, vcc, 0, v15, vcc
	v_add_co_u32_e32 v7, vcc, v7, v14
	v_addc_co_u32_e32 v9, vcc, v9, v15, vcc
	v_ashrrev_i32_e32 v18, 31, v13
	v_add_co_u32_e32 v14, vcc, v12, v18
	v_addc_co_u32_e32 v15, vcc, v13, v18, vcc
	v_xor_b32_e32 v20, v14, v18
	v_xor_b32_e32 v19, v15, v18
	v_mad_u64_u32 v[14:15], s[4:5], v20, v9, 0
	v_mul_hi_u32 v16, v20, v7
	v_add_co_u32_e32 v21, vcc, v16, v14
	v_addc_co_u32_e32 v22, vcc, 0, v15, vcc
	v_mad_u64_u32 v[16:17], s[4:5], v19, v7, 0
	v_add_co_u32_e32 v7, vcc, v21, v16
	v_mad_u64_u32 v[14:15], s[4:5], v19, v9, 0
	v_addc_co_u32_e32 v7, vcc, v22, v17, vcc
	v_addc_co_u32_e32 v9, vcc, 0, v15, vcc
	v_add_co_u32_e32 v7, vcc, v7, v14
	v_addc_co_u32_e32 v9, vcc, 0, v9, vcc
	v_mul_lo_u32 v16, s41, v7
	v_mul_lo_u32 v17, s40, v9
	v_mad_u64_u32 v[14:15], s[4:5], s40, v7, 0
	v_add3_u32 v15, v15, v17, v16
	v_sub_u32_e32 v16, v19, v15
	v_mov_b32_e32 v17, s41
	v_sub_co_u32_e32 v14, vcc, v20, v14
	v_subb_co_u32_e64 v16, s[4:5], v16, v17, vcc
	v_subrev_co_u32_e64 v17, s[4:5], s40, v14
	v_subbrev_co_u32_e64 v16, s[4:5], 0, v16, s[4:5]
	v_cmp_le_u32_e64 s[4:5], s41, v16
	v_cndmask_b32_e64 v20, 0, -1, s[4:5]
	v_cmp_le_u32_e64 s[4:5], s40, v17
	v_cndmask_b32_e64 v17, 0, -1, s[4:5]
	v_cmp_eq_u32_e64 s[4:5], s41, v16
	v_cndmask_b32_e64 v16, v20, v17, s[4:5]
	v_add_co_u32_e64 v17, s[4:5], 2, v7
	v_subb_co_u32_e32 v15, vcc, v19, v15, vcc
	v_addc_co_u32_e64 v20, s[4:5], 0, v9, s[4:5]
	v_cmp_le_u32_e32 vcc, s41, v15
	v_add_co_u32_e64 v21, s[4:5], 1, v7
	v_cndmask_b32_e64 v19, 0, -1, vcc
	v_cmp_le_u32_e32 vcc, s40, v14
	v_addc_co_u32_e64 v22, s[4:5], 0, v9, s[4:5]
	v_cndmask_b32_e64 v14, 0, -1, vcc
	v_cmp_eq_u32_e32 vcc, s41, v15
	v_cmp_ne_u32_e64 s[4:5], 0, v16
	v_cndmask_b32_e32 v14, v19, v14, vcc
	v_cmp_ne_u32_e32 vcc, 0, v14
	v_cndmask_b32_e64 v14, v21, v17, s[4:5]
	v_cndmask_b32_e64 v16, v22, v20, s[4:5]
	v_cndmask_b32_e32 v7, v7, v14, vcc
	v_xor_b32_e32 v15, s38, v18
	v_cndmask_b32_e32 v9, v9, v16, vcc
	v_xor_b32_e32 v7, v7, v15
	v_xor_b32_e32 v9, v9, v15
	v_sub_co_u32_e32 v14, vcc, v7, v15
	v_subb_co_u32_e32 v15, vcc, v9, v15, vcc
.LBB70_23:                              ;   in Loop: Header=BB70_21 Depth=2
	s_andn2_saveexec_b64 s[4:5], s[36:37]
	s_cbranch_execz .LBB70_25
; %bb.24:                               ;   in Loop: Header=BB70_21 Depth=2
	v_cvt_f32_u32_e32 v7, s34
	s_sub_i32 s36, 0, s34
	v_rcp_iflag_f32_e32 v7, v7
	v_mul_f32_e32 v7, 0x4f7ffffe, v7
	v_cvt_u32_f32_e32 v7, v7
	v_mul_lo_u32 v9, s36, v7
	v_mul_hi_u32 v9, v7, v9
	v_add_u32_e32 v7, v7, v9
	v_mul_hi_u32 v7, v12, v7
	v_mul_lo_u32 v9, v7, s34
	v_sub_u32_e32 v9, v12, v9
	v_add_u32_e32 v14, 1, v7
	v_subrev_u32_e32 v15, s34, v9
	v_cmp_le_u32_e32 vcc, s34, v9
	v_cndmask_b32_e32 v9, v9, v15, vcc
	v_cndmask_b32_e32 v7, v7, v14, vcc
	v_add_u32_e32 v14, 1, v7
	v_cmp_le_u32_e32 vcc, s34, v9
	v_cndmask_b32_e32 v14, v7, v14, vcc
	v_mov_b32_e32 v15, v6
.LBB70_25:                              ;   in Loop: Header=BB70_21 Depth=2
	s_or_b64 exec, exec, s[4:5]
	v_mad_u64_u32 v[16:17], s[4:5], v14, s34, 0
	s_load_dwordx2 s[4:5], s[30:31], 0xc8
	v_mul_lo_u32 v7, v15, s34
	v_mul_lo_u32 v9, v14, s35
	v_add3_u32 v7, v17, v9, v7
	v_sub_co_u32_e32 v9, vcc, v12, v16
	s_add_i32 s44, s44, -1
	v_subb_co_u32_e32 v7, vcc, v13, v7, vcc
	s_add_u32 s30, s30, -8
	s_waitcnt lgkmcnt(0)
	v_mul_lo_u32 v7, s4, v7
	v_mul_lo_u32 v12, s5, v9
	v_mad_u64_u32 v[10:11], s[4:5], s4, v9, v[10:11]
	s_addc_u32 s31, s31, -1
	s_cmp_gt_u32 s44, 2
	v_add3_u32 v11, v12, v11, v7
	s_cbranch_scc0 .LBB70_27
; %bb.26:                               ;   in Loop: Header=BB70_21 Depth=2
	v_pk_mov_b32 v[12:13], v[14:15], v[14:15] op_sel:[0,1]
	s_branch .LBB70_21
.LBB70_27:                              ;   in Loop: Header=BB70_20 Depth=1
	s_waitcnt lgkmcnt(0)
	v_mul_lo_u32 v7, s23, v14
	v_mul_lo_u32 v9, s22, v15
	v_mad_u64_u32 v[12:13], s[4:5], s22, v14, 0
	v_add3_u32 v13, v13, v9, v7
	v_lshlrev_b64 v[12:13], 2, v[12:13]
	v_mov_b32_e32 v7, s25
	v_add_co_u32_e32 v9, vcc, s24, v12
	v_addc_co_u32_e32 v7, vcc, v7, v13, vcc
	v_lshlrev_b64 v[10:11], 2, v[10:11]
	v_add_co_u32_e32 v10, vcc, v9, v10
	v_addc_co_u32_e32 v11, vcc, v7, v11, vcc
	global_load_dword v10, v[10:11], off
	s_waitcnt vmcnt(0)
	v_ashrrev_i32_e32 v11, 31, v10
	v_cmp_le_i64_e32 vcc, s[10:11], v[10:11]
	v_cmp_ge_i64_e64 s[4:5], s[12:13], v[10:11]
	s_and_b64 s[4:5], vcc, s[4:5]
	s_and_saveexec_b64 s[30:31], s[4:5]
	s_cbranch_execz .LBB70_19
; %bb.28:                               ;   in Loop: Header=BB70_20 Depth=1
	v_mov_b32_e32 v7, s11
	v_subrev_co_u32_e32 v9, vcc, s10, v10
	v_subb_co_u32_e32 v7, vcc, v11, v7, vcc
	v_mul_lo_u32 v7, v7, s8
	v_mul_lo_u32 v12, v9, s9
	v_mad_u64_u32 v[10:11], s[4:5], v9, s8, 0
	v_add3_u32 v11, v11, v12, v7
	v_or_b32_e32 v7, s42, v11
	v_cmp_ne_u64_e32 vcc, 0, v[6:7]
                                        ; implicit-def: $vgpr12_vgpr13
	s_and_saveexec_b64 s[4:5], vcc
	s_xor_b64 s[34:35], exec, s[4:5]
	s_cbranch_execz .LBB70_30
; %bb.29:                               ;   in Loop: Header=BB70_20 Depth=1
	s_ashr_i32 s36, s42, 31
	s_add_u32 s4, s33, s36
	s_mov_b32 s37, s36
	s_addc_u32 s5, s42, s36
	s_xor_b64 s[38:39], s[4:5], s[36:37]
	v_cvt_f32_u32_e32 v7, s38
	v_cvt_f32_u32_e32 v9, s39
	s_sub_u32 s4, 0, s38
	s_subb_u32 s5, 0, s39
	v_mac_f32_e32 v7, 0x4f800000, v9
	v_rcp_f32_e32 v7, v7
	v_mul_f32_e32 v7, 0x5f7ffffc, v7
	v_mul_f32_e32 v9, 0x2f800000, v7
	v_trunc_f32_e32 v9, v9
	v_mac_f32_e32 v7, 0xcf800000, v9
	v_cvt_u32_f32_e32 v9, v9
	v_cvt_u32_f32_e32 v7, v7
	v_mul_lo_u32 v12, s4, v9
	v_mul_hi_u32 v14, s4, v7
	v_mul_lo_u32 v13, s5, v7
	v_add_u32_e32 v12, v14, v12
	v_mul_lo_u32 v15, s4, v7
	v_add_u32_e32 v12, v12, v13
	v_mul_lo_u32 v14, v7, v12
	v_mul_hi_u32 v16, v7, v15
	v_mul_hi_u32 v13, v7, v12
	v_add_co_u32_e32 v14, vcc, v16, v14
	v_addc_co_u32_e32 v13, vcc, 0, v13, vcc
	v_mul_hi_u32 v17, v9, v15
	v_mul_lo_u32 v15, v9, v15
	v_add_co_u32_e32 v14, vcc, v14, v15
	v_mul_hi_u32 v16, v9, v12
	v_addc_co_u32_e32 v13, vcc, v13, v17, vcc
	v_addc_co_u32_e32 v14, vcc, 0, v16, vcc
	v_mul_lo_u32 v12, v9, v12
	v_add_co_u32_e32 v12, vcc, v13, v12
	v_addc_co_u32_e32 v13, vcc, 0, v14, vcc
	v_add_co_u32_e32 v7, vcc, v7, v12
	v_addc_co_u32_e32 v9, vcc, v9, v13, vcc
	v_mul_lo_u32 v12, s4, v9
	v_mul_hi_u32 v13, s4, v7
	v_add_u32_e32 v12, v13, v12
	v_mul_lo_u32 v13, s5, v7
	v_add_u32_e32 v12, v12, v13
	v_mul_lo_u32 v14, s4, v7
	v_mul_hi_u32 v15, v9, v14
	v_mul_lo_u32 v16, v9, v14
	v_mul_lo_u32 v18, v7, v12
	v_mul_hi_u32 v14, v7, v14
	v_mul_hi_u32 v17, v7, v12
	v_add_co_u32_e32 v14, vcc, v14, v18
	v_addc_co_u32_e32 v17, vcc, 0, v17, vcc
	v_add_co_u32_e32 v14, vcc, v14, v16
	v_mul_hi_u32 v13, v9, v12
	v_addc_co_u32_e32 v14, vcc, v17, v15, vcc
	v_addc_co_u32_e32 v13, vcc, 0, v13, vcc
	v_mul_lo_u32 v12, v9, v12
	v_add_co_u32_e32 v12, vcc, v14, v12
	v_addc_co_u32_e32 v13, vcc, 0, v13, vcc
	v_add_co_u32_e32 v7, vcc, v7, v12
	v_addc_co_u32_e32 v9, vcc, v9, v13, vcc
	v_ashrrev_i32_e32 v14, 31, v11
	v_add_co_u32_e32 v10, vcc, v10, v14
	v_addc_co_u32_e32 v11, vcc, v11, v14, vcc
	v_xor_b32_e32 v16, v10, v14
	v_xor_b32_e32 v15, v11, v14
	v_mad_u64_u32 v[10:11], s[4:5], v16, v9, 0
	v_mul_hi_u32 v12, v16, v7
	v_add_co_u32_e32 v17, vcc, v12, v10
	v_addc_co_u32_e32 v18, vcc, 0, v11, vcc
	v_mad_u64_u32 v[12:13], s[4:5], v15, v7, 0
	v_add_co_u32_e32 v7, vcc, v17, v12
	v_mad_u64_u32 v[10:11], s[4:5], v15, v9, 0
	v_addc_co_u32_e32 v7, vcc, v18, v13, vcc
	v_addc_co_u32_e32 v9, vcc, 0, v11, vcc
	v_add_co_u32_e32 v7, vcc, v7, v10
	v_addc_co_u32_e32 v9, vcc, 0, v9, vcc
	v_mul_lo_u32 v12, s39, v7
	v_mul_lo_u32 v9, s38, v9
	v_mad_u64_u32 v[10:11], s[4:5], s38, v7, 0
	v_add3_u32 v9, v11, v9, v12
	v_sub_u32_e32 v11, v15, v9
	v_mov_b32_e32 v12, s39
	v_sub_co_u32_e32 v10, vcc, v16, v10
	v_subb_co_u32_e64 v11, s[4:5], v11, v12, vcc
	v_subrev_co_u32_e64 v12, s[4:5], s38, v10
	v_subbrev_co_u32_e64 v11, s[4:5], 0, v11, s[4:5]
	v_cmp_le_u32_e64 s[4:5], s39, v11
	v_subb_co_u32_e32 v9, vcc, v15, v9, vcc
	v_cndmask_b32_e64 v13, 0, -1, s[4:5]
	v_cmp_le_u32_e64 s[4:5], s38, v12
	v_cmp_le_u32_e32 vcc, s39, v9
	v_cndmask_b32_e64 v12, 0, -1, s[4:5]
	v_cmp_eq_u32_e64 s[4:5], s39, v11
	v_cndmask_b32_e64 v15, 0, -1, vcc
	v_cmp_le_u32_e32 vcc, s38, v10
	v_cndmask_b32_e64 v11, v13, v12, s[4:5]
	v_cndmask_b32_e64 v10, 0, -1, vcc
	v_cmp_eq_u32_e32 vcc, s39, v9
	v_add_co_u32_e64 v12, s[4:5], 2, v7
	v_add_co_u32_e64 v13, s[4:5], 1, v7
	v_cndmask_b32_e32 v9, v15, v10, vcc
	v_cmp_ne_u32_e32 vcc, 0, v11
	v_cndmask_b32_e32 v10, v13, v12, vcc
	v_cmp_ne_u32_e32 vcc, 0, v9
	v_cndmask_b32_e32 v7, v7, v10, vcc
	v_xor_b32_e32 v9, s36, v14
	v_xor_b32_e32 v7, v7, v9
	v_sub_co_u32_e32 v12, vcc, v7, v9
                                        ; implicit-def: $vgpr10_vgpr11
.LBB70_30:                              ;   in Loop: Header=BB70_20 Depth=1
	s_andn2_saveexec_b64 s[4:5], s[34:35]
	s_cbranch_execz .LBB70_18
; %bb.31:                               ;   in Loop: Header=BB70_20 Depth=1
	v_cvt_f32_u32_e32 v7, s33
	s_sub_i32 s34, 0, s33
	v_rcp_iflag_f32_e32 v7, v7
	v_mul_f32_e32 v7, 0x4f7ffffe, v7
	v_cvt_u32_f32_e32 v7, v7
	v_mul_lo_u32 v9, s34, v7
	v_mul_hi_u32 v9, v7, v9
	v_add_u32_e32 v7, v7, v9
	v_mul_hi_u32 v7, v10, v7
	v_mul_lo_u32 v9, v7, s33
	v_sub_u32_e32 v9, v10, v9
	v_add_u32_e32 v11, 1, v7
	v_subrev_u32_e32 v10, s33, v9
	v_cmp_le_u32_e32 vcc, s33, v9
	v_cndmask_b32_e32 v9, v9, v10, vcc
	v_cndmask_b32_e32 v7, v7, v11, vcc
	v_add_u32_e32 v10, 1, v7
	v_cmp_le_u32_e32 vcc, s33, v9
	v_cndmask_b32_e32 v12, v7, v10, vcc
	s_branch .LBB70_18
.LBB70_32:
	s_or_b64 exec, exec, s[6:7]
; %bb.33:
	s_waitcnt lgkmcnt(0)
	s_barrier
	s_and_saveexec_b64 s[2:3], s[0:1]
	s_cbranch_execz .LBB70_36
; %bb.34:
	v_mad_u64_u32 v[4:5], s[0:1], s20, v0, 0
	v_mov_b32_e32 v6, v5
	v_mad_u64_u32 v[6:7], s[0:1], s21, v0, v[6:7]
	v_mov_b32_e32 v5, v6
	;; [unrolled: 2-line block ×3, first 2 shown]
	v_lshlrev_b64 v[4:5], 2, v[4:5]
	v_mad_u64_u32 v[8:9], s[0:1], s21, v2, v[8:9]
	v_mov_b32_e32 v3, s17
	v_add_co_u32_e32 v4, vcc, s16, v4
	v_mov_b32_e32 v7, v8
	v_addc_co_u32_e32 v5, vcc, v3, v5, vcc
	v_lshlrev_b64 v[6:7], 2, v[6:7]
	v_lshl_add_u32 v3, v0, 2, 0
	v_lshlrev_b32_e32 v8, 2, v2
	s_mov_b64 s[0:1], 0
.LBB70_35:                              ; =>This Inner Loop Header: Depth=1
	ds_read_b32 v9, v3
	v_add_co_u32_e32 v0, vcc, v0, v2
	v_addc_co_u32_e32 v1, vcc, 0, v1, vcc
	s_waitcnt lgkmcnt(0)
	global_atomic_add v[4:5], v9, off
	v_cmp_le_i64_e32 vcc, s[18:19], v[0:1]
	s_or_b64 s[0:1], vcc, s[0:1]
	v_add_co_u32_e32 v4, vcc, v4, v6
	v_add_u32_e32 v3, v3, v8
	v_addc_co_u32_e32 v5, vcc, v5, v7, vcc
	s_andn2_b64 exec, exec, s[0:1]
	s_cbranch_execnz .LBB70_35
.LBB70_36:
	s_endpgm
	.section	.rodata,"a",@progbits
	.p2align	6, 0x0
	.amdhsa_kernel _ZN2at4cuda17kernelHistogram1DIiilLi1ELi2ELin1ELNS0_23CUDAHistogramMemoryTypeE0EZNS0_21CUDA_tensor_histogramIiiLb0EEEbNS_6TensorES4_S4_lNS_14AccumulateTypeIT0_Lb1EE4typeES8_NS0_13TensorArgTypeES9_S9_EUllE0_EEvNS0_6detail10TensorInfoIT_T1_EESF_NSC_IKS6_SE_EElS8_S8_SE_T6_
		.amdhsa_group_segment_fixed_size 0
		.amdhsa_private_segment_fixed_size 0
		.amdhsa_kernarg_size 1544
		.amdhsa_user_sgpr_count 6
		.amdhsa_user_sgpr_private_segment_buffer 1
		.amdhsa_user_sgpr_dispatch_ptr 0
		.amdhsa_user_sgpr_queue_ptr 0
		.amdhsa_user_sgpr_kernarg_segment_ptr 1
		.amdhsa_user_sgpr_dispatch_id 0
		.amdhsa_user_sgpr_flat_scratch_init 0
		.amdhsa_user_sgpr_kernarg_preload_length 0
		.amdhsa_user_sgpr_kernarg_preload_offset 0
		.amdhsa_user_sgpr_private_segment_size 0
		.amdhsa_uses_dynamic_stack 0
		.amdhsa_system_sgpr_private_segment_wavefront_offset 0
		.amdhsa_system_sgpr_workgroup_id_x 1
		.amdhsa_system_sgpr_workgroup_id_y 0
		.amdhsa_system_sgpr_workgroup_id_z 0
		.amdhsa_system_sgpr_workgroup_info 0
		.amdhsa_system_vgpr_workitem_id 0
		.amdhsa_next_free_vgpr 23
		.amdhsa_next_free_sgpr 45
		.amdhsa_accum_offset 24
		.amdhsa_reserve_vcc 1
		.amdhsa_reserve_flat_scratch 0
		.amdhsa_float_round_mode_32 0
		.amdhsa_float_round_mode_16_64 0
		.amdhsa_float_denorm_mode_32 3
		.amdhsa_float_denorm_mode_16_64 3
		.amdhsa_dx10_clamp 1
		.amdhsa_ieee_mode 1
		.amdhsa_fp16_overflow 0
		.amdhsa_tg_split 0
		.amdhsa_exception_fp_ieee_invalid_op 0
		.amdhsa_exception_fp_denorm_src 0
		.amdhsa_exception_fp_ieee_div_zero 0
		.amdhsa_exception_fp_ieee_overflow 0
		.amdhsa_exception_fp_ieee_underflow 0
		.amdhsa_exception_fp_ieee_inexact 0
		.amdhsa_exception_int_div_zero 0
	.end_amdhsa_kernel
	.section	.text._ZN2at4cuda17kernelHistogram1DIiilLi1ELi2ELin1ELNS0_23CUDAHistogramMemoryTypeE0EZNS0_21CUDA_tensor_histogramIiiLb0EEEbNS_6TensorES4_S4_lNS_14AccumulateTypeIT0_Lb1EE4typeES8_NS0_13TensorArgTypeES9_S9_EUllE0_EEvNS0_6detail10TensorInfoIT_T1_EESF_NSC_IKS6_SE_EElS8_S8_SE_T6_,"axG",@progbits,_ZN2at4cuda17kernelHistogram1DIiilLi1ELi2ELin1ELNS0_23CUDAHistogramMemoryTypeE0EZNS0_21CUDA_tensor_histogramIiiLb0EEEbNS_6TensorES4_S4_lNS_14AccumulateTypeIT0_Lb1EE4typeES8_NS0_13TensorArgTypeES9_S9_EUllE0_EEvNS0_6detail10TensorInfoIT_T1_EESF_NSC_IKS6_SE_EElS8_S8_SE_T6_,comdat
.Lfunc_end70:
	.size	_ZN2at4cuda17kernelHistogram1DIiilLi1ELi2ELin1ELNS0_23CUDAHistogramMemoryTypeE0EZNS0_21CUDA_tensor_histogramIiiLb0EEEbNS_6TensorES4_S4_lNS_14AccumulateTypeIT0_Lb1EE4typeES8_NS0_13TensorArgTypeES9_S9_EUllE0_EEvNS0_6detail10TensorInfoIT_T1_EESF_NSC_IKS6_SE_EElS8_S8_SE_T6_, .Lfunc_end70-_ZN2at4cuda17kernelHistogram1DIiilLi1ELi2ELin1ELNS0_23CUDAHistogramMemoryTypeE0EZNS0_21CUDA_tensor_histogramIiiLb0EEEbNS_6TensorES4_S4_lNS_14AccumulateTypeIT0_Lb1EE4typeES8_NS0_13TensorArgTypeES9_S9_EUllE0_EEvNS0_6detail10TensorInfoIT_T1_EESF_NSC_IKS6_SE_EElS8_S8_SE_T6_
                                        ; -- End function
	.section	.AMDGPU.csdata,"",@progbits
; Kernel info:
; codeLenInByte = 3380
; NumSgprs: 49
; NumVgprs: 23
; NumAgprs: 0
; TotalNumVgprs: 23
; ScratchSize: 0
; MemoryBound: 0
; FloatMode: 240
; IeeeMode: 1
; LDSByteSize: 0 bytes/workgroup (compile time only)
; SGPRBlocks: 6
; VGPRBlocks: 2
; NumSGPRsForWavesPerEU: 49
; NumVGPRsForWavesPerEU: 23
; AccumOffset: 24
; Occupancy: 8
; WaveLimiterHint : 1
; COMPUTE_PGM_RSRC2:SCRATCH_EN: 0
; COMPUTE_PGM_RSRC2:USER_SGPR: 6
; COMPUTE_PGM_RSRC2:TRAP_HANDLER: 0
; COMPUTE_PGM_RSRC2:TGID_X_EN: 1
; COMPUTE_PGM_RSRC2:TGID_Y_EN: 0
; COMPUTE_PGM_RSRC2:TGID_Z_EN: 0
; COMPUTE_PGM_RSRC2:TIDIG_COMP_CNT: 0
; COMPUTE_PGM_RSRC3_GFX90A:ACCUM_OFFSET: 5
; COMPUTE_PGM_RSRC3_GFX90A:TG_SPLIT: 0
	.section	.text._ZN2at4cuda17kernelHistogram1DIiilLi1ELi2ELin1ELNS0_23CUDAHistogramMemoryTypeE1EZNS0_21CUDA_tensor_histogramIiiLb0EEEbNS_6TensorES4_S4_lNS_14AccumulateTypeIT0_Lb1EE4typeES8_NS0_13TensorArgTypeES9_S9_EUllE0_EEvNS0_6detail10TensorInfoIT_T1_EESF_NSC_IKS6_SE_EElS8_S8_SE_T6_,"axG",@progbits,_ZN2at4cuda17kernelHistogram1DIiilLi1ELi2ELin1ELNS0_23CUDAHistogramMemoryTypeE1EZNS0_21CUDA_tensor_histogramIiiLb0EEEbNS_6TensorES4_S4_lNS_14AccumulateTypeIT0_Lb1EE4typeES8_NS0_13TensorArgTypeES9_S9_EUllE0_EEvNS0_6detail10TensorInfoIT_T1_EESF_NSC_IKS6_SE_EElS8_S8_SE_T6_,comdat
	.protected	_ZN2at4cuda17kernelHistogram1DIiilLi1ELi2ELin1ELNS0_23CUDAHistogramMemoryTypeE1EZNS0_21CUDA_tensor_histogramIiiLb0EEEbNS_6TensorES4_S4_lNS_14AccumulateTypeIT0_Lb1EE4typeES8_NS0_13TensorArgTypeES9_S9_EUllE0_EEvNS0_6detail10TensorInfoIT_T1_EESF_NSC_IKS6_SE_EElS8_S8_SE_T6_ ; -- Begin function _ZN2at4cuda17kernelHistogram1DIiilLi1ELi2ELin1ELNS0_23CUDAHistogramMemoryTypeE1EZNS0_21CUDA_tensor_histogramIiiLb0EEEbNS_6TensorES4_S4_lNS_14AccumulateTypeIT0_Lb1EE4typeES8_NS0_13TensorArgTypeES9_S9_EUllE0_EEvNS0_6detail10TensorInfoIT_T1_EESF_NSC_IKS6_SE_EElS8_S8_SE_T6_
	.globl	_ZN2at4cuda17kernelHistogram1DIiilLi1ELi2ELin1ELNS0_23CUDAHistogramMemoryTypeE1EZNS0_21CUDA_tensor_histogramIiiLb0EEEbNS_6TensorES4_S4_lNS_14AccumulateTypeIT0_Lb1EE4typeES8_NS0_13TensorArgTypeES9_S9_EUllE0_EEvNS0_6detail10TensorInfoIT_T1_EESF_NSC_IKS6_SE_EElS8_S8_SE_T6_
	.p2align	8
	.type	_ZN2at4cuda17kernelHistogram1DIiilLi1ELi2ELin1ELNS0_23CUDAHistogramMemoryTypeE1EZNS0_21CUDA_tensor_histogramIiiLb0EEEbNS_6TensorES4_S4_lNS_14AccumulateTypeIT0_Lb1EE4typeES8_NS0_13TensorArgTypeES9_S9_EUllE0_EEvNS0_6detail10TensorInfoIT_T1_EESF_NSC_IKS6_SE_EElS8_S8_SE_T6_,@function
_ZN2at4cuda17kernelHistogram1DIiilLi1ELi2ELin1ELNS0_23CUDAHistogramMemoryTypeE1EZNS0_21CUDA_tensor_histogramIiiLb0EEEbNS_6TensorES4_S4_lNS_14AccumulateTypeIT0_Lb1EE4typeES8_NS0_13TensorArgTypeES9_S9_EUllE0_EEvNS0_6detail10TensorInfoIT_T1_EESF_NSC_IKS6_SE_EElS8_S8_SE_T6_: ; @_ZN2at4cuda17kernelHistogram1DIiilLi1ELi2ELin1ELNS0_23CUDAHistogramMemoryTypeE1EZNS0_21CUDA_tensor_histogramIiiLb0EEEbNS_6TensorES4_S4_lNS_14AccumulateTypeIT0_Lb1EE4typeES8_NS0_13TensorArgTypeES9_S9_EUllE0_EEvNS0_6detail10TensorInfoIT_T1_EESF_NSC_IKS6_SE_EElS8_S8_SE_T6_
; %bb.0:
	s_load_dword s2, s[4:5], 0x514
	s_load_dwordx8 s[8:15], s[4:5], 0x4e0
	s_add_u32 s0, s4, 0x508
	s_addc_u32 s1, s5, 0
	v_mov_b32_e32 v2, 0
	s_waitcnt lgkmcnt(0)
	s_and_b32 s2, s2, 0xffff
	s_mul_i32 s6, s6, s2
	v_add_u32_e32 v0, s6, v0
	v_mov_b32_e32 v1, v2
	v_cmp_gt_i64_e32 vcc, s[14:15], v[0:1]
	s_and_saveexec_b64 s[6:7], vcc
	s_cbranch_execz .LBB71_16
; %bb.1:
	s_load_dword s3, s[4:5], 0x4d8
	s_load_dwordx2 s[6:7], s[4:5], 0x0
	s_load_dwordx2 s[16:17], s[4:5], 0xd0
	s_load_dword s24, s[0:1], 0x0
	s_add_u32 s22, s4, 0x340
	s_addc_u32 s23, s5, 0
	s_mov_b32 s38, 0
	s_waitcnt lgkmcnt(0)
	s_cmp_gt_i32 s3, 1
	s_cselect_b64 s[0:1], -1, 0
	s_sub_u32 s33, s12, s10
	s_subb_u32 s36, s13, s11
	s_mul_i32 s37, s24, s2
	s_add_i32 s39, s3, 1
	s_add_i32 s2, s3, -1
	s_mov_b32 s3, s38
	s_load_dwordx2 s[18:19], s[4:5], 0x410
	s_load_dwordx2 s[20:21], s[4:5], 0x340
	s_lshl_b64 s[2:3], s[2:3], 3
	s_add_u32 s2, s2, s22
	s_addc_u32 s3, s3, s23
	s_add_u32 s4, s2, 8
	v_cndmask_b32_e64 v3, 0, 1, s[0:1]
	s_addc_u32 s5, s3, 0
	s_mov_b64 s[22:23], 0
	v_cmp_ne_u32_e64 s[0:1], 1, v3
	v_mov_b32_e32 v10, 1
	s_branch .LBB71_4
.LBB71_2:                               ;   in Loop: Header=BB71_4 Depth=1
	s_or_b64 exec, exec, s[2:3]
	v_ashrrev_i32_e32 v7, 31, v6
	v_cmp_eq_u64_e32 vcc, s[8:9], v[6:7]
	v_cndmask_b32_e64 v3, 0, 1, vcc
	v_sub_co_u32_e32 v3, vcc, v6, v3
	v_subbrev_co_u32_e32 v4, vcc, 0, v7, vcc
	v_mul_lo_u32 v6, v4, s16
	v_mul_lo_u32 v7, v3, s17
	v_mad_u64_u32 v[4:5], s[2:3], v3, s16, 0
	v_add3_u32 v5, v5, v7, v6
	v_lshlrev_b64 v[4:5], 2, v[4:5]
	v_mov_b32_e32 v3, s7
	v_add_co_u32_e32 v4, vcc, s6, v4
	v_addc_co_u32_e32 v5, vcc, v3, v5, vcc
	global_atomic_add v[4:5], v10, off
.LBB71_3:                               ;   in Loop: Header=BB71_4 Depth=1
	s_or_b64 exec, exec, s[24:25]
	v_mov_b32_e32 v3, s38
	v_add_co_u32_e32 v0, vcc, s37, v0
	v_addc_co_u32_e32 v1, vcc, v1, v3, vcc
	v_cmp_le_i64_e32 vcc, s[14:15], v[0:1]
	s_or_b64 s[22:23], vcc, s[22:23]
	s_andn2_b64 exec, exec, s[22:23]
	s_cbranch_execz .LBB71_16
.LBB71_4:                               ; =>This Loop Header: Depth=1
                                        ;     Child Loop BB71_5 Depth 2
	s_and_b64 vcc, exec, s[0:1]
	v_pk_mov_b32 v[4:5], 0, 0
	s_mov_b64 s[24:25], s[4:5]
	s_mov_b32 s40, s39
	v_pk_mov_b32 v[6:7], v[0:1], v[0:1] op_sel:[0,1]
	v_pk_mov_b32 v[8:9], v[0:1], v[0:1] op_sel:[0,1]
	s_cbranch_vccnz .LBB71_11
.LBB71_5:                               ;   Parent Loop BB71_4 Depth=1
                                        ; =>  This Inner Loop Header: Depth=2
	s_load_dwordx2 s[26:27], s[24:25], 0x0
                                        ; implicit-def: $vgpr8_vgpr9
	s_waitcnt lgkmcnt(0)
	v_or_b32_e32 v3, s27, v7
	v_cmp_ne_u64_e32 vcc, 0, v[2:3]
	s_and_saveexec_b64 s[2:3], vcc
	s_xor_b64 s[28:29], exec, s[2:3]
	s_cbranch_execz .LBB71_7
; %bb.6:                                ;   in Loop: Header=BB71_5 Depth=2
	s_ashr_i32 s30, s27, 31
	s_add_u32 s2, s26, s30
	s_mov_b32 s31, s30
	s_addc_u32 s3, s27, s30
	s_xor_b64 s[34:35], s[2:3], s[30:31]
	v_cvt_f32_u32_e32 v3, s34
	v_cvt_f32_u32_e32 v8, s35
	s_sub_u32 s2, 0, s34
	s_subb_u32 s3, 0, s35
	v_mac_f32_e32 v3, 0x4f800000, v8
	v_rcp_f32_e32 v3, v3
	v_mul_f32_e32 v3, 0x5f7ffffc, v3
	v_mul_f32_e32 v8, 0x2f800000, v3
	v_trunc_f32_e32 v8, v8
	v_mac_f32_e32 v3, 0xcf800000, v8
	v_cvt_u32_f32_e32 v8, v8
	v_cvt_u32_f32_e32 v3, v3
	v_mul_lo_u32 v9, s2, v8
	v_mul_hi_u32 v12, s2, v3
	v_mul_lo_u32 v11, s3, v3
	v_add_u32_e32 v9, v12, v9
	v_mul_lo_u32 v13, s2, v3
	v_add_u32_e32 v9, v9, v11
	v_mul_lo_u32 v12, v3, v9
	v_mul_hi_u32 v14, v3, v13
	v_mul_hi_u32 v11, v3, v9
	v_add_co_u32_e32 v12, vcc, v14, v12
	v_addc_co_u32_e32 v11, vcc, 0, v11, vcc
	v_mul_hi_u32 v15, v8, v13
	v_mul_lo_u32 v13, v8, v13
	v_add_co_u32_e32 v12, vcc, v12, v13
	v_mul_hi_u32 v14, v8, v9
	v_addc_co_u32_e32 v11, vcc, v11, v15, vcc
	v_addc_co_u32_e32 v12, vcc, 0, v14, vcc
	v_mul_lo_u32 v9, v8, v9
	v_add_co_u32_e32 v9, vcc, v11, v9
	v_addc_co_u32_e32 v11, vcc, 0, v12, vcc
	v_add_co_u32_e32 v3, vcc, v3, v9
	v_addc_co_u32_e32 v8, vcc, v8, v11, vcc
	v_mul_lo_u32 v9, s2, v8
	v_mul_hi_u32 v11, s2, v3
	v_add_u32_e32 v9, v11, v9
	v_mul_lo_u32 v11, s3, v3
	v_add_u32_e32 v9, v9, v11
	v_mul_lo_u32 v12, s2, v3
	v_mul_hi_u32 v13, v8, v12
	v_mul_lo_u32 v14, v8, v12
	v_mul_lo_u32 v16, v3, v9
	v_mul_hi_u32 v12, v3, v12
	v_mul_hi_u32 v15, v3, v9
	v_add_co_u32_e32 v12, vcc, v12, v16
	v_addc_co_u32_e32 v15, vcc, 0, v15, vcc
	v_add_co_u32_e32 v12, vcc, v12, v14
	v_mul_hi_u32 v11, v8, v9
	v_addc_co_u32_e32 v12, vcc, v15, v13, vcc
	v_addc_co_u32_e32 v11, vcc, 0, v11, vcc
	v_mul_lo_u32 v9, v8, v9
	v_add_co_u32_e32 v9, vcc, v12, v9
	v_addc_co_u32_e32 v11, vcc, 0, v11, vcc
	v_add_co_u32_e32 v3, vcc, v3, v9
	v_addc_co_u32_e32 v11, vcc, v8, v11, vcc
	v_ashrrev_i32_e32 v14, 31, v7
	v_add_co_u32_e32 v8, vcc, v6, v14
	v_addc_co_u32_e32 v9, vcc, v7, v14, vcc
	v_xor_b32_e32 v16, v8, v14
	v_xor_b32_e32 v15, v9, v14
	v_mad_u64_u32 v[8:9], s[2:3], v16, v11, 0
	v_mul_hi_u32 v12, v16, v3
	v_add_co_u32_e32 v17, vcc, v12, v8
	v_addc_co_u32_e32 v18, vcc, 0, v9, vcc
	v_mad_u64_u32 v[12:13], s[2:3], v15, v3, 0
	v_add_co_u32_e32 v3, vcc, v17, v12
	v_mad_u64_u32 v[8:9], s[2:3], v15, v11, 0
	v_addc_co_u32_e32 v3, vcc, v18, v13, vcc
	v_addc_co_u32_e32 v9, vcc, 0, v9, vcc
	v_add_co_u32_e32 v3, vcc, v3, v8
	v_addc_co_u32_e32 v11, vcc, 0, v9, vcc
	v_mul_lo_u32 v12, s35, v3
	v_mul_lo_u32 v13, s34, v11
	v_mad_u64_u32 v[8:9], s[2:3], s34, v3, 0
	v_add3_u32 v9, v9, v13, v12
	v_sub_u32_e32 v12, v15, v9
	v_mov_b32_e32 v13, s35
	v_sub_co_u32_e32 v8, vcc, v16, v8
	v_subb_co_u32_e64 v12, s[2:3], v12, v13, vcc
	v_subrev_co_u32_e64 v13, s[2:3], s34, v8
	v_subbrev_co_u32_e64 v12, s[2:3], 0, v12, s[2:3]
	v_cmp_le_u32_e64 s[2:3], s35, v12
	v_cndmask_b32_e64 v16, 0, -1, s[2:3]
	v_cmp_le_u32_e64 s[2:3], s34, v13
	v_cndmask_b32_e64 v13, 0, -1, s[2:3]
	v_cmp_eq_u32_e64 s[2:3], s35, v12
	v_cndmask_b32_e64 v12, v16, v13, s[2:3]
	v_add_co_u32_e64 v13, s[2:3], 2, v3
	v_subb_co_u32_e32 v9, vcc, v15, v9, vcc
	v_addc_co_u32_e64 v16, s[2:3], 0, v11, s[2:3]
	v_cmp_le_u32_e32 vcc, s35, v9
	v_add_co_u32_e64 v17, s[2:3], 1, v3
	v_cndmask_b32_e64 v15, 0, -1, vcc
	v_cmp_le_u32_e32 vcc, s34, v8
	v_addc_co_u32_e64 v18, s[2:3], 0, v11, s[2:3]
	v_cndmask_b32_e64 v8, 0, -1, vcc
	v_cmp_eq_u32_e32 vcc, s35, v9
	v_cmp_ne_u32_e64 s[2:3], 0, v12
	v_cndmask_b32_e32 v8, v15, v8, vcc
	v_cmp_ne_u32_e32 vcc, 0, v8
	v_cndmask_b32_e64 v9, v17, v13, s[2:3]
	v_cndmask_b32_e64 v12, v18, v16, s[2:3]
	v_cndmask_b32_e32 v3, v3, v9, vcc
	v_xor_b32_e32 v9, s30, v14
	v_cndmask_b32_e32 v8, v11, v12, vcc
	v_xor_b32_e32 v3, v3, v9
	v_xor_b32_e32 v11, v8, v9
	v_sub_co_u32_e32 v8, vcc, v3, v9
	v_subb_co_u32_e32 v9, vcc, v11, v9, vcc
.LBB71_7:                               ;   in Loop: Header=BB71_5 Depth=2
	s_andn2_saveexec_b64 s[2:3], s[28:29]
	s_cbranch_execz .LBB71_9
; %bb.8:                                ;   in Loop: Header=BB71_5 Depth=2
	v_cvt_f32_u32_e32 v3, s26
	s_sub_i32 s28, 0, s26
	v_rcp_iflag_f32_e32 v3, v3
	v_mul_f32_e32 v3, 0x4f7ffffe, v3
	v_cvt_u32_f32_e32 v3, v3
	v_mul_lo_u32 v8, s28, v3
	v_mul_hi_u32 v8, v3, v8
	v_add_u32_e32 v3, v3, v8
	v_mul_hi_u32 v3, v6, v3
	v_mul_lo_u32 v8, v3, s26
	v_sub_u32_e32 v8, v6, v8
	v_add_u32_e32 v9, 1, v3
	v_subrev_u32_e32 v11, s26, v8
	v_cmp_le_u32_e32 vcc, s26, v8
	v_cndmask_b32_e32 v8, v8, v11, vcc
	v_cndmask_b32_e32 v3, v3, v9, vcc
	v_add_u32_e32 v9, 1, v3
	v_cmp_le_u32_e32 vcc, s26, v8
	v_cndmask_b32_e32 v8, v3, v9, vcc
	v_mov_b32_e32 v9, v2
.LBB71_9:                               ;   in Loop: Header=BB71_5 Depth=2
	s_or_b64 exec, exec, s[2:3]
	v_mad_u64_u32 v[12:13], s[2:3], v8, s26, 0
	s_load_dwordx2 s[2:3], s[24:25], 0xc8
	v_mul_lo_u32 v3, v9, s26
	v_mul_lo_u32 v11, v8, s27
	v_add3_u32 v3, v13, v11, v3
	v_sub_co_u32_e32 v6, vcc, v6, v12
	s_add_i32 s40, s40, -1
	v_subb_co_u32_e32 v3, vcc, v7, v3, vcc
	s_add_u32 s24, s24, -8
	s_waitcnt lgkmcnt(0)
	v_mul_lo_u32 v3, s2, v3
	v_mul_lo_u32 v7, s3, v6
	v_mad_u64_u32 v[4:5], s[2:3], s2, v6, v[4:5]
	s_addc_u32 s25, s25, -1
	s_cmp_gt_u32 s40, 2
	v_add3_u32 v5, v7, v5, v3
	s_cbranch_scc0 .LBB71_11
; %bb.10:                               ;   in Loop: Header=BB71_5 Depth=2
	v_pk_mov_b32 v[6:7], v[8:9], v[8:9] op_sel:[0,1]
	s_branch .LBB71_5
.LBB71_11:                              ;   in Loop: Header=BB71_4 Depth=1
	s_waitcnt lgkmcnt(0)
	v_mul_lo_u32 v3, s19, v8
	v_mul_lo_u32 v9, s18, v9
	v_mad_u64_u32 v[6:7], s[2:3], s18, v8, 0
	v_add3_u32 v7, v7, v9, v3
	v_lshlrev_b64 v[6:7], 2, v[6:7]
	v_mov_b32_e32 v3, s21
	v_add_co_u32_e32 v6, vcc, s20, v6
	v_addc_co_u32_e32 v3, vcc, v3, v7, vcc
	v_lshlrev_b64 v[4:5], 2, v[4:5]
	v_add_co_u32_e32 v4, vcc, v6, v4
	v_addc_co_u32_e32 v5, vcc, v3, v5, vcc
	global_load_dword v4, v[4:5], off
	s_waitcnt vmcnt(0)
	v_ashrrev_i32_e32 v5, 31, v4
	v_cmp_le_i64_e32 vcc, s[10:11], v[4:5]
	v_cmp_ge_i64_e64 s[2:3], s[12:13], v[4:5]
	s_and_b64 s[2:3], vcc, s[2:3]
	s_and_saveexec_b64 s[24:25], s[2:3]
	s_cbranch_execz .LBB71_3
; %bb.12:                               ;   in Loop: Header=BB71_4 Depth=1
	v_mov_b32_e32 v3, s11
	v_subrev_co_u32_e32 v4, vcc, s10, v4
	v_subb_co_u32_e32 v3, vcc, v5, v3, vcc
	v_mul_lo_u32 v3, v3, s8
	v_mul_lo_u32 v6, v4, s9
	v_mad_u64_u32 v[4:5], s[2:3], v4, s8, 0
	v_add3_u32 v5, v5, v6, v3
	v_or_b32_e32 v3, s36, v5
	v_cmp_ne_u64_e32 vcc, 0, v[2:3]
                                        ; implicit-def: $vgpr6_vgpr7
	s_and_saveexec_b64 s[2:3], vcc
	s_xor_b64 s[26:27], exec, s[2:3]
	s_cbranch_execz .LBB71_14
; %bb.13:                               ;   in Loop: Header=BB71_4 Depth=1
	s_ashr_i32 s28, s36, 31
	s_add_u32 s2, s33, s28
	s_mov_b32 s29, s28
	s_addc_u32 s3, s36, s28
	s_xor_b64 s[30:31], s[2:3], s[28:29]
	v_cvt_f32_u32_e32 v3, s30
	v_cvt_f32_u32_e32 v6, s31
	s_sub_u32 s2, 0, s30
	s_subb_u32 s3, 0, s31
	v_mac_f32_e32 v3, 0x4f800000, v6
	v_rcp_f32_e32 v3, v3
	v_mul_f32_e32 v3, 0x5f7ffffc, v3
	v_mul_f32_e32 v6, 0x2f800000, v3
	v_trunc_f32_e32 v6, v6
	v_mac_f32_e32 v3, 0xcf800000, v6
	v_cvt_u32_f32_e32 v6, v6
	v_cvt_u32_f32_e32 v3, v3
	v_mul_lo_u32 v7, s2, v6
	v_mul_hi_u32 v9, s2, v3
	v_mul_lo_u32 v8, s3, v3
	v_add_u32_e32 v7, v9, v7
	v_mul_lo_u32 v11, s2, v3
	v_add_u32_e32 v7, v7, v8
	v_mul_lo_u32 v9, v3, v7
	v_mul_hi_u32 v12, v3, v11
	v_mul_hi_u32 v8, v3, v7
	v_add_co_u32_e32 v9, vcc, v12, v9
	v_addc_co_u32_e32 v8, vcc, 0, v8, vcc
	v_mul_hi_u32 v13, v6, v11
	v_mul_lo_u32 v11, v6, v11
	v_add_co_u32_e32 v9, vcc, v9, v11
	v_mul_hi_u32 v12, v6, v7
	v_addc_co_u32_e32 v8, vcc, v8, v13, vcc
	v_addc_co_u32_e32 v9, vcc, 0, v12, vcc
	v_mul_lo_u32 v7, v6, v7
	v_add_co_u32_e32 v7, vcc, v8, v7
	v_addc_co_u32_e32 v8, vcc, 0, v9, vcc
	v_add_co_u32_e32 v3, vcc, v3, v7
	v_addc_co_u32_e32 v6, vcc, v6, v8, vcc
	v_mul_lo_u32 v7, s2, v6
	v_mul_hi_u32 v8, s2, v3
	v_add_u32_e32 v7, v8, v7
	v_mul_lo_u32 v8, s3, v3
	v_add_u32_e32 v7, v7, v8
	v_mul_lo_u32 v9, s2, v3
	v_mul_hi_u32 v11, v6, v9
	v_mul_lo_u32 v12, v6, v9
	v_mul_lo_u32 v14, v3, v7
	v_mul_hi_u32 v9, v3, v9
	v_mul_hi_u32 v13, v3, v7
	v_add_co_u32_e32 v9, vcc, v9, v14
	v_addc_co_u32_e32 v13, vcc, 0, v13, vcc
	v_add_co_u32_e32 v9, vcc, v9, v12
	v_mul_hi_u32 v8, v6, v7
	v_addc_co_u32_e32 v9, vcc, v13, v11, vcc
	v_addc_co_u32_e32 v8, vcc, 0, v8, vcc
	v_mul_lo_u32 v7, v6, v7
	v_add_co_u32_e32 v7, vcc, v9, v7
	v_addc_co_u32_e32 v8, vcc, 0, v8, vcc
	v_add_co_u32_e32 v3, vcc, v3, v7
	v_addc_co_u32_e32 v6, vcc, v6, v8, vcc
	v_ashrrev_i32_e32 v8, 31, v5
	v_add_co_u32_e32 v4, vcc, v4, v8
	v_addc_co_u32_e32 v5, vcc, v5, v8, vcc
	v_xor_b32_e32 v11, v4, v8
	v_xor_b32_e32 v9, v5, v8
	v_mad_u64_u32 v[4:5], s[2:3], v11, v6, 0
	v_mul_hi_u32 v7, v11, v3
	v_add_co_u32_e32 v12, vcc, v7, v4
	v_addc_co_u32_e32 v13, vcc, 0, v5, vcc
	v_mad_u64_u32 v[4:5], s[2:3], v9, v6, 0
	v_mad_u64_u32 v[6:7], s[2:3], v9, v3, 0
	v_add_co_u32_e32 v3, vcc, v12, v6
	v_addc_co_u32_e32 v3, vcc, v13, v7, vcc
	v_addc_co_u32_e32 v5, vcc, 0, v5, vcc
	v_add_co_u32_e32 v3, vcc, v3, v4
	v_addc_co_u32_e32 v4, vcc, 0, v5, vcc
	v_mul_lo_u32 v6, s31, v3
	v_mul_lo_u32 v7, s30, v4
	v_mad_u64_u32 v[4:5], s[2:3], s30, v3, 0
	v_add3_u32 v5, v5, v7, v6
	v_sub_u32_e32 v6, v9, v5
	v_mov_b32_e32 v7, s31
	v_sub_co_u32_e32 v4, vcc, v11, v4
	v_subb_co_u32_e64 v6, s[2:3], v6, v7, vcc
	v_subrev_co_u32_e64 v7, s[2:3], s30, v4
	v_subbrev_co_u32_e64 v6, s[2:3], 0, v6, s[2:3]
	v_cmp_le_u32_e64 s[2:3], s31, v6
	v_subb_co_u32_e32 v5, vcc, v9, v5, vcc
	v_cndmask_b32_e64 v11, 0, -1, s[2:3]
	v_cmp_le_u32_e64 s[2:3], s30, v7
	v_cmp_le_u32_e32 vcc, s31, v5
	v_cndmask_b32_e64 v7, 0, -1, s[2:3]
	v_cmp_eq_u32_e64 s[2:3], s31, v6
	v_cndmask_b32_e64 v9, 0, -1, vcc
	v_cmp_le_u32_e32 vcc, s30, v4
	v_cndmask_b32_e64 v6, v11, v7, s[2:3]
	v_cndmask_b32_e64 v4, 0, -1, vcc
	v_cmp_eq_u32_e32 vcc, s31, v5
	v_add_co_u32_e64 v7, s[2:3], 2, v3
	v_add_co_u32_e64 v11, s[2:3], 1, v3
	v_cndmask_b32_e32 v4, v9, v4, vcc
	v_cmp_ne_u32_e32 vcc, 0, v6
	v_cndmask_b32_e32 v5, v11, v7, vcc
	v_cmp_ne_u32_e32 vcc, 0, v4
	v_cndmask_b32_e32 v3, v3, v5, vcc
	v_xor_b32_e32 v4, s28, v8
	v_xor_b32_e32 v3, v3, v4
	v_sub_co_u32_e32 v6, vcc, v3, v4
                                        ; implicit-def: $vgpr4_vgpr5
.LBB71_14:                              ;   in Loop: Header=BB71_4 Depth=1
	s_andn2_saveexec_b64 s[2:3], s[26:27]
	s_cbranch_execz .LBB71_2
; %bb.15:                               ;   in Loop: Header=BB71_4 Depth=1
	v_cvt_f32_u32_e32 v3, s33
	s_sub_i32 s26, 0, s33
	v_rcp_iflag_f32_e32 v3, v3
	v_mul_f32_e32 v3, 0x4f7ffffe, v3
	v_cvt_u32_f32_e32 v3, v3
	v_mul_lo_u32 v5, s26, v3
	v_mul_hi_u32 v5, v3, v5
	v_add_u32_e32 v3, v3, v5
	v_mul_hi_u32 v3, v4, v3
	v_mul_lo_u32 v5, v3, s33
	v_sub_u32_e32 v4, v4, v5
	v_add_u32_e32 v6, 1, v3
	v_subrev_u32_e32 v5, s33, v4
	v_cmp_le_u32_e32 vcc, s33, v4
	v_cndmask_b32_e32 v4, v4, v5, vcc
	v_cndmask_b32_e32 v3, v3, v6, vcc
	v_add_u32_e32 v5, 1, v3
	v_cmp_le_u32_e32 vcc, s33, v4
	v_cndmask_b32_e32 v6, v3, v5, vcc
	s_branch .LBB71_2
.LBB71_16:
	s_endpgm
	.section	.rodata,"a",@progbits
	.p2align	6, 0x0
	.amdhsa_kernel _ZN2at4cuda17kernelHistogram1DIiilLi1ELi2ELin1ELNS0_23CUDAHistogramMemoryTypeE1EZNS0_21CUDA_tensor_histogramIiiLb0EEEbNS_6TensorES4_S4_lNS_14AccumulateTypeIT0_Lb1EE4typeES8_NS0_13TensorArgTypeES9_S9_EUllE0_EEvNS0_6detail10TensorInfoIT_T1_EESF_NSC_IKS6_SE_EElS8_S8_SE_T6_
		.amdhsa_group_segment_fixed_size 0
		.amdhsa_private_segment_fixed_size 0
		.amdhsa_kernarg_size 1544
		.amdhsa_user_sgpr_count 6
		.amdhsa_user_sgpr_private_segment_buffer 1
		.amdhsa_user_sgpr_dispatch_ptr 0
		.amdhsa_user_sgpr_queue_ptr 0
		.amdhsa_user_sgpr_kernarg_segment_ptr 1
		.amdhsa_user_sgpr_dispatch_id 0
		.amdhsa_user_sgpr_flat_scratch_init 0
		.amdhsa_user_sgpr_kernarg_preload_length 0
		.amdhsa_user_sgpr_kernarg_preload_offset 0
		.amdhsa_user_sgpr_private_segment_size 0
		.amdhsa_uses_dynamic_stack 0
		.amdhsa_system_sgpr_private_segment_wavefront_offset 0
		.amdhsa_system_sgpr_workgroup_id_x 1
		.amdhsa_system_sgpr_workgroup_id_y 0
		.amdhsa_system_sgpr_workgroup_id_z 0
		.amdhsa_system_sgpr_workgroup_info 0
		.amdhsa_system_vgpr_workitem_id 0
		.amdhsa_next_free_vgpr 19
		.amdhsa_next_free_sgpr 41
		.amdhsa_accum_offset 20
		.amdhsa_reserve_vcc 1
		.amdhsa_reserve_flat_scratch 0
		.amdhsa_float_round_mode_32 0
		.amdhsa_float_round_mode_16_64 0
		.amdhsa_float_denorm_mode_32 3
		.amdhsa_float_denorm_mode_16_64 3
		.amdhsa_dx10_clamp 1
		.amdhsa_ieee_mode 1
		.amdhsa_fp16_overflow 0
		.amdhsa_tg_split 0
		.amdhsa_exception_fp_ieee_invalid_op 0
		.amdhsa_exception_fp_denorm_src 0
		.amdhsa_exception_fp_ieee_div_zero 0
		.amdhsa_exception_fp_ieee_overflow 0
		.amdhsa_exception_fp_ieee_underflow 0
		.amdhsa_exception_fp_ieee_inexact 0
		.amdhsa_exception_int_div_zero 0
	.end_amdhsa_kernel
	.section	.text._ZN2at4cuda17kernelHistogram1DIiilLi1ELi2ELin1ELNS0_23CUDAHistogramMemoryTypeE1EZNS0_21CUDA_tensor_histogramIiiLb0EEEbNS_6TensorES4_S4_lNS_14AccumulateTypeIT0_Lb1EE4typeES8_NS0_13TensorArgTypeES9_S9_EUllE0_EEvNS0_6detail10TensorInfoIT_T1_EESF_NSC_IKS6_SE_EElS8_S8_SE_T6_,"axG",@progbits,_ZN2at4cuda17kernelHistogram1DIiilLi1ELi2ELin1ELNS0_23CUDAHistogramMemoryTypeE1EZNS0_21CUDA_tensor_histogramIiiLb0EEEbNS_6TensorES4_S4_lNS_14AccumulateTypeIT0_Lb1EE4typeES8_NS0_13TensorArgTypeES9_S9_EUllE0_EEvNS0_6detail10TensorInfoIT_T1_EESF_NSC_IKS6_SE_EElS8_S8_SE_T6_,comdat
.Lfunc_end71:
	.size	_ZN2at4cuda17kernelHistogram1DIiilLi1ELi2ELin1ELNS0_23CUDAHistogramMemoryTypeE1EZNS0_21CUDA_tensor_histogramIiiLb0EEEbNS_6TensorES4_S4_lNS_14AccumulateTypeIT0_Lb1EE4typeES8_NS0_13TensorArgTypeES9_S9_EUllE0_EEvNS0_6detail10TensorInfoIT_T1_EESF_NSC_IKS6_SE_EElS8_S8_SE_T6_, .Lfunc_end71-_ZN2at4cuda17kernelHistogram1DIiilLi1ELi2ELin1ELNS0_23CUDAHistogramMemoryTypeE1EZNS0_21CUDA_tensor_histogramIiiLb0EEEbNS_6TensorES4_S4_lNS_14AccumulateTypeIT0_Lb1EE4typeES8_NS0_13TensorArgTypeES9_S9_EUllE0_EEvNS0_6detail10TensorInfoIT_T1_EESF_NSC_IKS6_SE_EElS8_S8_SE_T6_
                                        ; -- End function
	.section	.AMDGPU.csdata,"",@progbits
; Kernel info:
; codeLenInByte = 2216
; NumSgprs: 45
; NumVgprs: 19
; NumAgprs: 0
; TotalNumVgprs: 19
; ScratchSize: 0
; MemoryBound: 0
; FloatMode: 240
; IeeeMode: 1
; LDSByteSize: 0 bytes/workgroup (compile time only)
; SGPRBlocks: 5
; VGPRBlocks: 2
; NumSGPRsForWavesPerEU: 45
; NumVGPRsForWavesPerEU: 19
; AccumOffset: 20
; Occupancy: 8
; WaveLimiterHint : 1
; COMPUTE_PGM_RSRC2:SCRATCH_EN: 0
; COMPUTE_PGM_RSRC2:USER_SGPR: 6
; COMPUTE_PGM_RSRC2:TRAP_HANDLER: 0
; COMPUTE_PGM_RSRC2:TGID_X_EN: 1
; COMPUTE_PGM_RSRC2:TGID_Y_EN: 0
; COMPUTE_PGM_RSRC2:TGID_Z_EN: 0
; COMPUTE_PGM_RSRC2:TIDIG_COMP_CNT: 0
; COMPUTE_PGM_RSRC3_GFX90A:ACCUM_OFFSET: 4
; COMPUTE_PGM_RSRC3_GFX90A:TG_SPLIT: 0
	.section	.text._ZN2at4cuda17kernelHistogram1DIsslLi1ELi2ELin1ELNS0_23CUDAHistogramMemoryTypeE0EZNS0_21CUDA_tensor_histogramIssLb0EEEbNS_6TensorES4_S4_lNS_14AccumulateTypeIT0_Lb1EE4typeES8_NS0_13TensorArgTypeES9_S9_EUllE_EEvNS0_6detail10TensorInfoIT_T1_EESF_NSC_IKS6_SE_EElS8_S8_SE_T6_,"axG",@progbits,_ZN2at4cuda17kernelHistogram1DIsslLi1ELi2ELin1ELNS0_23CUDAHistogramMemoryTypeE0EZNS0_21CUDA_tensor_histogramIssLb0EEEbNS_6TensorES4_S4_lNS_14AccumulateTypeIT0_Lb1EE4typeES8_NS0_13TensorArgTypeES9_S9_EUllE_EEvNS0_6detail10TensorInfoIT_T1_EESF_NSC_IKS6_SE_EElS8_S8_SE_T6_,comdat
	.protected	_ZN2at4cuda17kernelHistogram1DIsslLi1ELi2ELin1ELNS0_23CUDAHistogramMemoryTypeE0EZNS0_21CUDA_tensor_histogramIssLb0EEEbNS_6TensorES4_S4_lNS_14AccumulateTypeIT0_Lb1EE4typeES8_NS0_13TensorArgTypeES9_S9_EUllE_EEvNS0_6detail10TensorInfoIT_T1_EESF_NSC_IKS6_SE_EElS8_S8_SE_T6_ ; -- Begin function _ZN2at4cuda17kernelHistogram1DIsslLi1ELi2ELin1ELNS0_23CUDAHistogramMemoryTypeE0EZNS0_21CUDA_tensor_histogramIssLb0EEEbNS_6TensorES4_S4_lNS_14AccumulateTypeIT0_Lb1EE4typeES8_NS0_13TensorArgTypeES9_S9_EUllE_EEvNS0_6detail10TensorInfoIT_T1_EESF_NSC_IKS6_SE_EElS8_S8_SE_T6_
	.globl	_ZN2at4cuda17kernelHistogram1DIsslLi1ELi2ELin1ELNS0_23CUDAHistogramMemoryTypeE0EZNS0_21CUDA_tensor_histogramIssLb0EEEbNS_6TensorES4_S4_lNS_14AccumulateTypeIT0_Lb1EE4typeES8_NS0_13TensorArgTypeES9_S9_EUllE_EEvNS0_6detail10TensorInfoIT_T1_EESF_NSC_IKS6_SE_EElS8_S8_SE_T6_
	.p2align	8
	.type	_ZN2at4cuda17kernelHistogram1DIsslLi1ELi2ELin1ELNS0_23CUDAHistogramMemoryTypeE0EZNS0_21CUDA_tensor_histogramIssLb0EEEbNS_6TensorES4_S4_lNS_14AccumulateTypeIT0_Lb1EE4typeES8_NS0_13TensorArgTypeES9_S9_EUllE_EEvNS0_6detail10TensorInfoIT_T1_EESF_NSC_IKS6_SE_EElS8_S8_SE_T6_,@function
_ZN2at4cuda17kernelHistogram1DIsslLi1ELi2ELin1ELNS0_23CUDAHistogramMemoryTypeE0EZNS0_21CUDA_tensor_histogramIssLb0EEEbNS_6TensorES4_S4_lNS_14AccumulateTypeIT0_Lb1EE4typeES8_NS0_13TensorArgTypeES9_S9_EUllE_EEvNS0_6detail10TensorInfoIT_T1_EESF_NSC_IKS6_SE_EElS8_S8_SE_T6_: ; @_ZN2at4cuda17kernelHistogram1DIsslLi1ELi2ELin1ELNS0_23CUDAHistogramMemoryTypeE0EZNS0_21CUDA_tensor_histogramIssLb0EEEbNS_6TensorES4_S4_lNS_14AccumulateTypeIT0_Lb1EE4typeES8_NS0_13TensorArgTypeES9_S9_EUllE_EEvNS0_6detail10TensorInfoIT_T1_EESF_NSC_IKS6_SE_EElS8_S8_SE_T6_
; %bb.0:
	s_load_dwordx4 s[16:19], s[4:5], 0x0
	s_load_dwordx2 s[22:23], s[4:5], 0x500
	s_load_dwordx8 s[8:15], s[4:5], 0x4e0
	v_mov_b32_e32 v1, 0
	s_add_u32 s28, s4, 0x6a0
	s_waitcnt lgkmcnt(0)
	v_cmp_gt_i64_e64 s[0:1], s[18:19], v[0:1]
	v_cmp_le_i64_e32 vcc, s[18:19], v[0:1]
	s_addc_u32 s29, s5, 0
                                        ; implicit-def: $sgpr7
	s_and_saveexec_b64 s[2:3], vcc
	s_xor_b64 s[2:3], exec, s[2:3]
	s_cbranch_execz .LBB72_2
; %bb.1:
	s_load_dword s7, s[28:29], 0xc
.LBB72_2:
	s_or_saveexec_b64 s[26:27], s[2:3]
	s_load_dwordx2 s[20:21], s[4:5], 0xd0
	s_load_dwordx2 s[24:25], s[4:5], 0x5d0
	s_waitcnt lgkmcnt(0)
	v_mov_b32_e32 v4, s7
	s_xor_b64 exec, exec, s[26:27]
	s_cbranch_execz .LBB72_16
; %bb.3:
	s_load_dword s7, s[28:29], 0xc
	v_mov_b32_e32 v2, s19
	s_mov_b32 s34, 0
	s_waitcnt lgkmcnt(0)
	s_and_b32 s33, s7, 0xffff
	v_add_co_u32_e32 v4, vcc, s33, v0
	v_addc_co_u32_e64 v5, s[2:3], 0, 0, vcc
	v_cmp_gt_i64_e32 vcc, s[18:19], v[4:5]
	v_cndmask_b32_e32 v6, v5, v2, vcc
	v_mov_b32_e32 v2, s18
	v_cndmask_b32_e32 v3, v4, v2, vcc
	v_cndmask_b32_e64 v2, 0, 1, vcc
	v_add_co_u32_e32 v4, vcc, v4, v2
	v_addc_co_u32_e32 v5, vcc, 0, v5, vcc
	v_sub_co_u32_e32 v3, vcc, v3, v4
	v_subb_co_u32_e32 v5, vcc, v6, v5, vcc
	v_mov_b32_e32 v4, 0
	v_cmp_ne_u64_e32 vcc, 0, v[4:5]
                                        ; implicit-def: $vgpr6_vgpr7
	s_and_saveexec_b64 s[2:3], vcc
	s_xor_b64 s[30:31], exec, s[2:3]
	s_cbranch_execz .LBB72_5
; %bb.4:
	v_cvt_f32_u32_e32 v4, s33
	v_mov_b32_e32 v6, 0x4f800000
	s_sub_u32 s2, 0, s33
	s_subb_u32 s3, 0, 0
	v_mac_f32_e32 v4, 0, v6
	v_rcp_f32_e32 v4, v4
	v_mul_f32_e32 v4, 0x5f7ffffc, v4
	v_mul_f32_e32 v6, 0x2f800000, v4
	v_trunc_f32_e32 v6, v6
	v_madmk_f32 v4, v6, 0xcf800000, v4
	v_cvt_u32_f32_e32 v6, v6
	v_cvt_u32_f32_e32 v4, v4
	v_mul_lo_u32 v7, s2, v6
	v_mul_hi_u32 v9, s2, v4
	v_mul_lo_u32 v8, s3, v4
	v_add_u32_e32 v7, v9, v7
	v_mul_lo_u32 v10, s2, v4
	v_add_u32_e32 v7, v7, v8
	v_mul_hi_u32 v9, v4, v10
	v_mul_lo_u32 v11, v4, v7
	v_mul_hi_u32 v8, v4, v7
	v_add_co_u32_e32 v9, vcc, v9, v11
	v_addc_co_u32_e32 v8, vcc, 0, v8, vcc
	v_mul_hi_u32 v12, v6, v10
	v_mul_lo_u32 v10, v6, v10
	v_add_co_u32_e32 v9, vcc, v9, v10
	v_mul_hi_u32 v11, v6, v7
	v_addc_co_u32_e32 v8, vcc, v8, v12, vcc
	v_addc_co_u32_e32 v9, vcc, 0, v11, vcc
	v_mul_lo_u32 v7, v6, v7
	v_add_co_u32_e32 v7, vcc, v8, v7
	v_addc_co_u32_e32 v8, vcc, 0, v9, vcc
	v_add_co_u32_e32 v4, vcc, v4, v7
	v_addc_co_u32_e32 v6, vcc, v6, v8, vcc
	v_mul_lo_u32 v7, s2, v6
	v_mul_hi_u32 v8, s2, v4
	v_add_u32_e32 v7, v8, v7
	v_mul_lo_u32 v8, s3, v4
	v_add_u32_e32 v7, v7, v8
	v_mul_lo_u32 v9, s2, v4
	v_mul_hi_u32 v10, v6, v9
	v_mul_lo_u32 v11, v6, v9
	v_mul_lo_u32 v13, v4, v7
	v_mul_hi_u32 v9, v4, v9
	v_mul_hi_u32 v12, v4, v7
	v_add_co_u32_e32 v9, vcc, v9, v13
	v_addc_co_u32_e32 v12, vcc, 0, v12, vcc
	v_add_co_u32_e32 v9, vcc, v9, v11
	v_mul_hi_u32 v8, v6, v7
	v_addc_co_u32_e32 v9, vcc, v12, v10, vcc
	v_addc_co_u32_e32 v8, vcc, 0, v8, vcc
	v_mul_lo_u32 v7, v6, v7
	v_add_co_u32_e32 v7, vcc, v9, v7
	v_addc_co_u32_e32 v8, vcc, 0, v8, vcc
	v_add_co_u32_e32 v4, vcc, v4, v7
	v_addc_co_u32_e32 v8, vcc, v6, v8, vcc
	v_mad_u64_u32 v[6:7], s[2:3], v3, v8, 0
	v_mul_hi_u32 v9, v3, v4
	v_add_co_u32_e32 v10, vcc, v9, v6
	v_addc_co_u32_e32 v11, vcc, 0, v7, vcc
	v_mad_u64_u32 v[6:7], s[2:3], v5, v8, 0
	v_mad_u64_u32 v[8:9], s[2:3], v5, v4, 0
	v_add_co_u32_e32 v4, vcc, v10, v8
	v_addc_co_u32_e32 v4, vcc, v11, v9, vcc
	v_addc_co_u32_e32 v7, vcc, 0, v7, vcc
	v_add_co_u32_e32 v10, vcc, v4, v6
	v_addc_co_u32_e32 v11, vcc, 0, v7, vcc
	v_mad_u64_u32 v[6:7], s[2:3], s33, v10, 0
	v_mov_b32_e32 v4, v7
	v_mad_u64_u32 v[8:9], s[2:3], s33, v11, v[4:5]
	v_sub_co_u32_e32 v3, vcc, v3, v6
	v_subb_co_u32_e32 v4, vcc, v5, v8, vcc
	v_subrev_co_u32_e32 v5, vcc, s33, v3
	v_subbrev_co_u32_e32 v6, vcc, 0, v4, vcc
	v_cmp_le_u32_e32 vcc, s33, v5
	v_cndmask_b32_e64 v5, 0, -1, vcc
	v_cmp_eq_u32_e32 vcc, 0, v6
	v_cndmask_b32_e32 v5, -1, v5, vcc
	v_add_co_u32_e32 v6, vcc, 2, v10
	v_addc_co_u32_e32 v7, vcc, 0, v11, vcc
	v_add_co_u32_e32 v8, vcc, 1, v10
	v_cmp_le_u32_e64 s[2:3], s33, v3
	v_addc_co_u32_e32 v9, vcc, 0, v11, vcc
	v_cndmask_b32_e64 v3, 0, -1, s[2:3]
	v_cmp_eq_u32_e64 s[2:3], 0, v4
	v_cmp_ne_u32_e32 vcc, 0, v5
	v_cndmask_b32_e64 v3, -1, v3, s[2:3]
	v_cndmask_b32_e32 v5, v9, v7, vcc
	v_cmp_ne_u32_e64 s[2:3], 0, v3
	v_cndmask_b32_e32 v3, v8, v6, vcc
	v_cndmask_b32_e64 v7, v11, v5, s[2:3]
	v_cndmask_b32_e64 v6, v10, v3, s[2:3]
                                        ; implicit-def: $vgpr3
.LBB72_5:
	s_andn2_saveexec_b64 s[2:3], s[30:31]
	s_cbranch_execz .LBB72_7
; %bb.6:
	v_cvt_f32_u32_e32 v4, s33
	s_sub_i32 s30, 0, s33
	v_mov_b32_e32 v7, 0
	v_rcp_iflag_f32_e32 v4, v4
	v_mul_f32_e32 v4, 0x4f7ffffe, v4
	v_cvt_u32_f32_e32 v4, v4
	v_mul_lo_u32 v5, s30, v4
	v_mul_hi_u32 v5, v4, v5
	v_add_u32_e32 v4, v4, v5
	v_mul_hi_u32 v4, v3, v4
	v_mul_lo_u32 v5, v4, s33
	v_sub_u32_e32 v3, v3, v5
	v_add_u32_e32 v6, 1, v4
	v_subrev_u32_e32 v5, s33, v3
	v_cmp_le_u32_e32 vcc, s33, v3
	v_cndmask_b32_e32 v3, v3, v5, vcc
	v_cndmask_b32_e32 v4, v4, v6, vcc
	v_add_u32_e32 v5, 1, v4
	v_cmp_le_u32_e32 vcc, s33, v3
	v_cndmask_b32_e32 v6, v4, v5, vcc
.LBB72_7:
	s_or_b64 exec, exec, s[2:3]
	v_add_co_u32_e32 v2, vcc, v6, v2
	v_addc_co_u32_e32 v3, vcc, 0, v7, vcc
	v_add_co_u32_e32 v4, vcc, 1, v2
	v_addc_co_u32_e32 v5, vcc, 0, v3, vcc
	v_cmp_lt_u64_e32 vcc, 3, v[4:5]
	v_cmp_eq_u16_e64 s[2:3], s7, 1
	s_and_b64 s[36:37], vcc, s[2:3]
	s_mov_b64 s[30:31], -1
	v_pk_mov_b32 v[2:3], v[0:1], v[0:1] op_sel:[0,1]
                                        ; implicit-def: $sgpr35
	s_and_saveexec_b64 s[2:3], s[36:37]
	s_cbranch_execz .LBB72_11
; %bb.8:
	v_and_b32_e32 v6, -4, v4
	v_mov_b32_e32 v7, v5
	v_mov_b32_e32 v2, 0
	v_lshl_add_u32 v10, v0, 1, 0
	s_mov_b64 s[30:31], 0
	v_mov_b32_e32 v3, v2
	v_pk_mov_b32 v[8:9], v[6:7], v[6:7] op_sel:[0,1]
.LBB72_9:                               ; =>This Inner Loop Header: Depth=1
	v_add_co_u32_e32 v8, vcc, -4, v8
	v_addc_co_u32_e32 v9, vcc, -1, v9, vcc
	v_cmp_eq_u64_e32 vcc, 0, v[8:9]
	ds_write_b64 v10, v[2:3]
	s_or_b64 s[30:31], vcc, s[30:31]
	v_add_u32_e32 v10, 8, v10
	s_andn2_b64 exec, exec, s[30:31]
	s_cbranch_execnz .LBB72_9
; %bb.10:
	s_or_b64 exec, exec, s[30:31]
	v_mad_u64_u32 v[2:3], s[30:31], v6, s33, v[0:1]
	v_mov_b32_e32 v8, v3
	v_mad_u64_u32 v[8:9], s[30:31], v7, s33, v[8:9]
	v_cmp_ne_u64_e32 vcc, v[4:5], v[6:7]
	v_mov_b32_e32 v3, v8
	s_mov_b32 s35, 1
	s_orn2_b64 s[30:31], vcc, exec
.LBB72_11:
	s_or_b64 exec, exec, s[2:3]
	v_mov_b32_e32 v4, s35
	s_and_saveexec_b64 s[2:3], s[30:31]
	s_cbranch_execz .LBB72_15
; %bb.12:
	v_mov_b32_e32 v4, 0
	v_lshl_add_u32 v5, v2, 1, 0
	s_lshl_b32 s35, s33, 1
	s_mov_b64 s[30:31], 0
	v_mov_b32_e32 v6, s34
.LBB72_13:                              ; =>This Inner Loop Header: Depth=1
	v_add_co_u32_e32 v2, vcc, s33, v2
	v_addc_co_u32_e32 v3, vcc, v3, v6, vcc
	v_cmp_le_i64_e32 vcc, s[18:19], v[2:3]
	ds_write_b16 v5, v4
	s_or_b64 s[30:31], vcc, s[30:31]
	v_add_u32_e32 v5, s35, v5
	s_andn2_b64 exec, exec, s[30:31]
	s_cbranch_execnz .LBB72_13
; %bb.14:
	s_or_b64 exec, exec, s[30:31]
	v_mov_b32_e32 v4, s7
.LBB72_15:
	s_or_b64 exec, exec, s[2:3]
.LBB72_16:
	s_or_b64 exec, exec, s[26:27]
	v_and_b32_e32 v2, 0xffff, v4
	v_mad_u64_u32 v[4:5], s[2:3], s6, v2, v[0:1]
	v_mov_b32_e32 v6, 0
	v_mov_b32_e32 v5, v6
	v_cmp_gt_i64_e32 vcc, s[14:15], v[4:5]
	s_waitcnt lgkmcnt(0)
	s_barrier
	s_waitcnt lgkmcnt(0)
                                        ; kill: def $vgpr3 killed $sgpr0 killed $exec
	s_and_saveexec_b64 s[26:27], vcc
	s_cbranch_execz .LBB72_37
; %bb.17:
	s_load_dword s6, s[4:5], 0x4d8
	s_add_u32 s7, s4, 0x340
	s_addc_u32 s35, s5, 0
	s_load_dword s34, s[28:29], 0x0
	s_load_dwordx2 s[30:31], s[4:5], 0x340
	s_mov_b64 s[36:37], 0
	s_load_dwordx2 s[28:29], s[4:5], 0x410
	s_waitcnt lgkmcnt(0)
	s_cmp_gt_i32 s6, 1
	s_cselect_b64 s[2:3], -1, 0
	s_sub_u32 s33, s12, s10
	s_subb_u32 s46, s13, s11
	s_mov_b32 s5, 0
	s_add_i32 s4, s6, -1
	s_add_i32 s47, s6, 1
	s_lshl_b64 s[4:5], s[4:5], 3
	s_add_u32 s4, s4, s7
	s_addc_u32 s5, s5, s35
	v_mul_lo_u32 v8, s34, v2
	s_add_u32 s34, s4, 8
	v_cndmask_b32_e64 v3, 0, 1, s[2:3]
	s_addc_u32 s35, s5, 0
	v_cmp_ne_u32_e64 s[2:3], 1, v3
	s_mov_b32 s48, 0xffff0000
	s_branch .LBB72_19
.LBB72_18:                              ;   in Loop: Header=BB72_19 Depth=1
	s_or_b64 exec, exec, s[38:39]
	v_add_co_u32_e32 v4, vcc, v4, v8
	v_addc_co_u32_e32 v5, vcc, 0, v5, vcc
	v_cmp_le_i64_e32 vcc, s[14:15], v[4:5]
	s_or_b64 s[36:37], vcc, s[36:37]
	s_andn2_b64 exec, exec, s[36:37]
	s_cbranch_execz .LBB72_37
.LBB72_19:                              ; =>This Loop Header: Depth=1
                                        ;     Child Loop BB72_20 Depth 2
                                        ;     Child Loop BB72_33 Depth 2
	s_and_b64 vcc, exec, s[2:3]
	v_pk_mov_b32 v[10:11], 0, 0
	s_mov_b64 s[6:7], s[34:35]
	s_mov_b32 s49, s47
	v_pk_mov_b32 v[12:13], v[4:5], v[4:5] op_sel:[0,1]
	v_pk_mov_b32 v[14:15], v[4:5], v[4:5] op_sel:[0,1]
	s_cbranch_vccnz .LBB72_26
.LBB72_20:                              ;   Parent Loop BB72_19 Depth=1
                                        ; =>  This Inner Loop Header: Depth=2
	s_load_dwordx2 s[38:39], s[6:7], 0x0
                                        ; implicit-def: $vgpr14_vgpr15
	s_waitcnt lgkmcnt(0)
	v_or_b32_e32 v7, s39, v13
	v_cmp_ne_u64_e32 vcc, 0, v[6:7]
	s_and_saveexec_b64 s[4:5], vcc
	s_xor_b64 s[40:41], exec, s[4:5]
	s_cbranch_execz .LBB72_22
; %bb.21:                               ;   in Loop: Header=BB72_20 Depth=2
	s_ashr_i32 s42, s39, 31
	s_add_u32 s4, s38, s42
	s_mov_b32 s43, s42
	s_addc_u32 s5, s39, s42
	s_xor_b64 s[44:45], s[4:5], s[42:43]
	v_cvt_f32_u32_e32 v3, s44
	v_cvt_f32_u32_e32 v7, s45
	s_sub_u32 s4, 0, s44
	s_subb_u32 s5, 0, s45
	v_mac_f32_e32 v3, 0x4f800000, v7
	v_rcp_f32_e32 v3, v3
	v_mul_f32_e32 v3, 0x5f7ffffc, v3
	v_mul_f32_e32 v7, 0x2f800000, v3
	v_trunc_f32_e32 v7, v7
	v_mac_f32_e32 v3, 0xcf800000, v7
	v_cvt_u32_f32_e32 v7, v7
	v_cvt_u32_f32_e32 v3, v3
	v_mul_lo_u32 v9, s4, v7
	v_mul_hi_u32 v15, s4, v3
	v_mul_lo_u32 v14, s5, v3
	v_add_u32_e32 v9, v15, v9
	v_mul_lo_u32 v16, s4, v3
	v_add_u32_e32 v9, v9, v14
	v_mul_lo_u32 v15, v3, v9
	v_mul_hi_u32 v17, v3, v16
	v_mul_hi_u32 v14, v3, v9
	v_add_co_u32_e32 v15, vcc, v17, v15
	v_addc_co_u32_e32 v14, vcc, 0, v14, vcc
	v_mul_hi_u32 v18, v7, v16
	v_mul_lo_u32 v16, v7, v16
	v_add_co_u32_e32 v15, vcc, v15, v16
	v_mul_hi_u32 v17, v7, v9
	v_addc_co_u32_e32 v14, vcc, v14, v18, vcc
	v_addc_co_u32_e32 v15, vcc, 0, v17, vcc
	v_mul_lo_u32 v9, v7, v9
	v_add_co_u32_e32 v9, vcc, v14, v9
	v_addc_co_u32_e32 v14, vcc, 0, v15, vcc
	v_add_co_u32_e32 v3, vcc, v3, v9
	v_addc_co_u32_e32 v7, vcc, v7, v14, vcc
	v_mul_lo_u32 v9, s4, v7
	v_mul_hi_u32 v14, s4, v3
	v_add_u32_e32 v9, v14, v9
	v_mul_lo_u32 v14, s5, v3
	v_add_u32_e32 v9, v9, v14
	v_mul_lo_u32 v15, s4, v3
	v_mul_hi_u32 v16, v7, v15
	v_mul_lo_u32 v17, v7, v15
	v_mul_lo_u32 v19, v3, v9
	v_mul_hi_u32 v15, v3, v15
	v_mul_hi_u32 v18, v3, v9
	v_add_co_u32_e32 v15, vcc, v15, v19
	v_addc_co_u32_e32 v18, vcc, 0, v18, vcc
	v_add_co_u32_e32 v15, vcc, v15, v17
	v_mul_hi_u32 v14, v7, v9
	v_addc_co_u32_e32 v15, vcc, v18, v16, vcc
	v_addc_co_u32_e32 v14, vcc, 0, v14, vcc
	v_mul_lo_u32 v9, v7, v9
	v_add_co_u32_e32 v9, vcc, v15, v9
	v_addc_co_u32_e32 v14, vcc, 0, v14, vcc
	v_add_co_u32_e32 v3, vcc, v3, v9
	v_addc_co_u32_e32 v7, vcc, v7, v14, vcc
	v_ashrrev_i32_e32 v9, 31, v13
	v_add_co_u32_e32 v14, vcc, v12, v9
	v_addc_co_u32_e32 v15, vcc, v13, v9, vcc
	v_xor_b32_e32 v19, v14, v9
	v_xor_b32_e32 v18, v15, v9
	v_mad_u64_u32 v[14:15], s[4:5], v19, v7, 0
	v_mul_hi_u32 v16, v19, v3
	v_add_co_u32_e32 v20, vcc, v16, v14
	v_addc_co_u32_e32 v21, vcc, 0, v15, vcc
	v_mad_u64_u32 v[16:17], s[4:5], v18, v3, 0
	v_add_co_u32_e32 v3, vcc, v20, v16
	v_mad_u64_u32 v[14:15], s[4:5], v18, v7, 0
	v_addc_co_u32_e32 v3, vcc, v21, v17, vcc
	v_addc_co_u32_e32 v7, vcc, 0, v15, vcc
	v_add_co_u32_e32 v3, vcc, v3, v14
	v_addc_co_u32_e32 v7, vcc, 0, v7, vcc
	v_mul_lo_u32 v16, s45, v3
	v_mul_lo_u32 v17, s44, v7
	v_mad_u64_u32 v[14:15], s[4:5], s44, v3, 0
	v_add3_u32 v15, v15, v17, v16
	v_sub_u32_e32 v16, v18, v15
	v_mov_b32_e32 v17, s45
	v_sub_co_u32_e32 v14, vcc, v19, v14
	v_subb_co_u32_e64 v16, s[4:5], v16, v17, vcc
	v_subrev_co_u32_e64 v17, s[4:5], s44, v14
	v_subbrev_co_u32_e64 v16, s[4:5], 0, v16, s[4:5]
	v_cmp_le_u32_e64 s[4:5], s45, v16
	v_cndmask_b32_e64 v19, 0, -1, s[4:5]
	v_cmp_le_u32_e64 s[4:5], s44, v17
	v_cndmask_b32_e64 v17, 0, -1, s[4:5]
	v_cmp_eq_u32_e64 s[4:5], s45, v16
	v_cndmask_b32_e64 v16, v19, v17, s[4:5]
	v_add_co_u32_e64 v17, s[4:5], 2, v3
	v_subb_co_u32_e32 v15, vcc, v18, v15, vcc
	v_addc_co_u32_e64 v19, s[4:5], 0, v7, s[4:5]
	v_cmp_le_u32_e32 vcc, s45, v15
	v_add_co_u32_e64 v20, s[4:5], 1, v3
	v_cndmask_b32_e64 v18, 0, -1, vcc
	v_cmp_le_u32_e32 vcc, s44, v14
	v_addc_co_u32_e64 v21, s[4:5], 0, v7, s[4:5]
	v_cndmask_b32_e64 v14, 0, -1, vcc
	v_cmp_eq_u32_e32 vcc, s45, v15
	v_cmp_ne_u32_e64 s[4:5], 0, v16
	v_cndmask_b32_e32 v14, v18, v14, vcc
	v_cmp_ne_u32_e32 vcc, 0, v14
	v_cndmask_b32_e64 v14, v20, v17, s[4:5]
	v_cndmask_b32_e64 v16, v21, v19, s[4:5]
	v_cndmask_b32_e32 v3, v3, v14, vcc
	v_xor_b32_e32 v9, s42, v9
	v_cndmask_b32_e32 v7, v7, v16, vcc
	v_xor_b32_e32 v3, v3, v9
	v_xor_b32_e32 v7, v7, v9
	v_sub_co_u32_e32 v14, vcc, v3, v9
	v_subb_co_u32_e32 v15, vcc, v7, v9, vcc
.LBB72_22:                              ;   in Loop: Header=BB72_20 Depth=2
	s_andn2_saveexec_b64 s[4:5], s[40:41]
	s_cbranch_execz .LBB72_24
; %bb.23:                               ;   in Loop: Header=BB72_20 Depth=2
	v_cvt_f32_u32_e32 v3, s38
	s_sub_i32 s40, 0, s38
	v_mov_b32_e32 v15, v6
	v_rcp_iflag_f32_e32 v3, v3
	v_mul_f32_e32 v3, 0x4f7ffffe, v3
	v_cvt_u32_f32_e32 v3, v3
	v_mul_lo_u32 v7, s40, v3
	v_mul_hi_u32 v7, v3, v7
	v_add_u32_e32 v3, v3, v7
	v_mul_hi_u32 v3, v12, v3
	v_mul_lo_u32 v7, v3, s38
	v_sub_u32_e32 v7, v12, v7
	v_add_u32_e32 v9, 1, v3
	v_subrev_u32_e32 v14, s38, v7
	v_cmp_le_u32_e32 vcc, s38, v7
	v_cndmask_b32_e32 v7, v7, v14, vcc
	v_cndmask_b32_e32 v3, v3, v9, vcc
	v_add_u32_e32 v9, 1, v3
	v_cmp_le_u32_e32 vcc, s38, v7
	v_cndmask_b32_e32 v14, v3, v9, vcc
.LBB72_24:                              ;   in Loop: Header=BB72_20 Depth=2
	s_or_b64 exec, exec, s[4:5]
	v_mad_u64_u32 v[16:17], s[4:5], v14, s38, 0
	s_load_dwordx2 s[4:5], s[6:7], 0xc8
	v_mul_lo_u32 v3, v15, s38
	v_mul_lo_u32 v7, v14, s39
	v_add3_u32 v3, v17, v7, v3
	v_sub_co_u32_e32 v7, vcc, v12, v16
	s_add_i32 s49, s49, -1
	v_subb_co_u32_e32 v3, vcc, v13, v3, vcc
	s_add_u32 s6, s6, -8
	s_waitcnt lgkmcnt(0)
	v_mul_lo_u32 v3, s4, v3
	v_mul_lo_u32 v9, s5, v7
	v_mad_u64_u32 v[10:11], s[4:5], s4, v7, v[10:11]
	s_addc_u32 s7, s7, -1
	s_cmp_gt_u32 s49, 2
	v_add3_u32 v11, v9, v11, v3
	s_cbranch_scc0 .LBB72_26
; %bb.25:                               ;   in Loop: Header=BB72_20 Depth=2
	v_pk_mov_b32 v[12:13], v[14:15], v[14:15] op_sel:[0,1]
	s_branch .LBB72_20
.LBB72_26:                              ;   in Loop: Header=BB72_19 Depth=1
	v_mul_lo_u32 v3, s29, v14
	v_mul_lo_u32 v7, s28, v15
	v_mad_u64_u32 v[12:13], s[4:5], s28, v14, 0
	v_add3_u32 v13, v13, v7, v3
	v_lshlrev_b64 v[12:13], 1, v[12:13]
	v_mov_b32_e32 v3, s31
	v_add_co_u32_e32 v7, vcc, s30, v12
	v_addc_co_u32_e32 v3, vcc, v3, v13, vcc
	v_lshlrev_b64 v[10:11], 1, v[10:11]
	v_add_co_u32_e32 v10, vcc, v7, v10
	v_addc_co_u32_e32 v11, vcc, v3, v11, vcc
	global_load_ushort v3, v[10:11], off
	s_waitcnt vmcnt(0)
	v_bfe_i32 v10, v3, 0, 16
	v_ashrrev_i32_e32 v11, 31, v10
	v_cmp_le_i64_e32 vcc, s[10:11], v[10:11]
	v_cmp_ge_i64_e64 s[4:5], s[12:13], v[10:11]
	s_and_b64 s[4:5], vcc, s[4:5]
	s_and_saveexec_b64 s[38:39], s[4:5]
	s_cbranch_execz .LBB72_18
; %bb.27:                               ;   in Loop: Header=BB72_19 Depth=1
	v_mov_b32_e32 v3, s11
	v_subrev_co_u32_e32 v7, vcc, s10, v10
	v_subb_co_u32_e32 v3, vcc, v11, v3, vcc
	v_mul_lo_u32 v3, v3, s8
	v_mul_lo_u32 v9, v7, s9
	v_mad_u64_u32 v[10:11], s[4:5], v7, s8, 0
	v_add3_u32 v11, v11, v9, v3
	v_or_b32_e32 v7, s46, v11
	v_cmp_ne_u64_e32 vcc, 0, v[6:7]
                                        ; implicit-def: $vgpr12_vgpr13
	s_and_saveexec_b64 s[4:5], vcc
	s_xor_b64 s[6:7], exec, s[4:5]
	s_cbranch_execz .LBB72_29
; %bb.28:                               ;   in Loop: Header=BB72_19 Depth=1
	s_ashr_i32 s40, s46, 31
	s_add_u32 s4, s33, s40
	s_mov_b32 s41, s40
	s_addc_u32 s5, s46, s40
	s_xor_b64 s[42:43], s[4:5], s[40:41]
	v_cvt_f32_u32_e32 v3, s42
	v_cvt_f32_u32_e32 v7, s43
	s_sub_u32 s4, 0, s42
	s_subb_u32 s5, 0, s43
	v_mac_f32_e32 v3, 0x4f800000, v7
	v_rcp_f32_e32 v3, v3
	v_mul_f32_e32 v3, 0x5f7ffffc, v3
	v_mul_f32_e32 v7, 0x2f800000, v3
	v_trunc_f32_e32 v7, v7
	v_mac_f32_e32 v3, 0xcf800000, v7
	v_cvt_u32_f32_e32 v7, v7
	v_cvt_u32_f32_e32 v3, v3
	v_mul_lo_u32 v9, s4, v7
	v_mul_hi_u32 v13, s4, v3
	v_mul_lo_u32 v12, s5, v3
	v_add_u32_e32 v9, v13, v9
	v_mul_lo_u32 v14, s4, v3
	v_add_u32_e32 v9, v9, v12
	v_mul_lo_u32 v13, v3, v9
	v_mul_hi_u32 v15, v3, v14
	v_mul_hi_u32 v12, v3, v9
	v_add_co_u32_e32 v13, vcc, v15, v13
	v_addc_co_u32_e32 v12, vcc, 0, v12, vcc
	v_mul_hi_u32 v16, v7, v14
	v_mul_lo_u32 v14, v7, v14
	v_add_co_u32_e32 v13, vcc, v13, v14
	v_mul_hi_u32 v15, v7, v9
	v_addc_co_u32_e32 v12, vcc, v12, v16, vcc
	v_addc_co_u32_e32 v13, vcc, 0, v15, vcc
	v_mul_lo_u32 v9, v7, v9
	v_add_co_u32_e32 v9, vcc, v12, v9
	v_addc_co_u32_e32 v12, vcc, 0, v13, vcc
	v_add_co_u32_e32 v3, vcc, v3, v9
	v_addc_co_u32_e32 v7, vcc, v7, v12, vcc
	v_mul_lo_u32 v9, s4, v7
	v_mul_hi_u32 v12, s4, v3
	v_add_u32_e32 v9, v12, v9
	v_mul_lo_u32 v12, s5, v3
	v_add_u32_e32 v9, v9, v12
	v_mul_lo_u32 v13, s4, v3
	v_mul_hi_u32 v14, v7, v13
	v_mul_lo_u32 v15, v7, v13
	v_mul_lo_u32 v17, v3, v9
	v_mul_hi_u32 v13, v3, v13
	v_mul_hi_u32 v16, v3, v9
	v_add_co_u32_e32 v13, vcc, v13, v17
	v_addc_co_u32_e32 v16, vcc, 0, v16, vcc
	v_add_co_u32_e32 v13, vcc, v13, v15
	v_mul_hi_u32 v12, v7, v9
	v_addc_co_u32_e32 v13, vcc, v16, v14, vcc
	v_addc_co_u32_e32 v12, vcc, 0, v12, vcc
	v_mul_lo_u32 v9, v7, v9
	v_add_co_u32_e32 v9, vcc, v13, v9
	v_addc_co_u32_e32 v12, vcc, 0, v12, vcc
	v_add_co_u32_e32 v3, vcc, v3, v9
	v_addc_co_u32_e32 v7, vcc, v7, v12, vcc
	v_ashrrev_i32_e32 v9, 31, v11
	v_add_co_u32_e32 v10, vcc, v10, v9
	v_addc_co_u32_e32 v11, vcc, v11, v9, vcc
	v_xor_b32_e32 v15, v10, v9
	v_xor_b32_e32 v14, v11, v9
	v_mad_u64_u32 v[10:11], s[4:5], v15, v7, 0
	v_mul_hi_u32 v12, v15, v3
	v_add_co_u32_e32 v16, vcc, v12, v10
	v_addc_co_u32_e32 v17, vcc, 0, v11, vcc
	v_mad_u64_u32 v[12:13], s[4:5], v14, v3, 0
	v_add_co_u32_e32 v3, vcc, v16, v12
	v_mad_u64_u32 v[10:11], s[4:5], v14, v7, 0
	v_addc_co_u32_e32 v3, vcc, v17, v13, vcc
	v_addc_co_u32_e32 v7, vcc, 0, v11, vcc
	v_add_co_u32_e32 v3, vcc, v3, v10
	v_addc_co_u32_e32 v7, vcc, 0, v7, vcc
	v_mul_lo_u32 v12, s43, v3
	v_mul_lo_u32 v7, s42, v7
	v_mad_u64_u32 v[10:11], s[4:5], s42, v3, 0
	v_add3_u32 v7, v11, v7, v12
	v_sub_u32_e32 v11, v14, v7
	v_mov_b32_e32 v12, s43
	v_sub_co_u32_e32 v10, vcc, v15, v10
	v_subb_co_u32_e64 v11, s[4:5], v11, v12, vcc
	v_subrev_co_u32_e64 v12, s[4:5], s42, v10
	v_subbrev_co_u32_e64 v11, s[4:5], 0, v11, s[4:5]
	v_cmp_le_u32_e64 s[4:5], s43, v11
	v_subb_co_u32_e32 v7, vcc, v14, v7, vcc
	v_cndmask_b32_e64 v13, 0, -1, s[4:5]
	v_cmp_le_u32_e64 s[4:5], s42, v12
	v_cmp_le_u32_e32 vcc, s43, v7
	v_cndmask_b32_e64 v12, 0, -1, s[4:5]
	v_cmp_eq_u32_e64 s[4:5], s43, v11
	v_cndmask_b32_e64 v14, 0, -1, vcc
	v_cmp_le_u32_e32 vcc, s42, v10
	v_cndmask_b32_e64 v11, v13, v12, s[4:5]
	v_cndmask_b32_e64 v10, 0, -1, vcc
	v_cmp_eq_u32_e32 vcc, s43, v7
	v_add_co_u32_e64 v12, s[4:5], 2, v3
	v_add_co_u32_e64 v13, s[4:5], 1, v3
	v_cndmask_b32_e32 v7, v14, v10, vcc
	v_cmp_ne_u32_e32 vcc, 0, v11
	v_cndmask_b32_e32 v10, v13, v12, vcc
	v_cmp_ne_u32_e32 vcc, 0, v7
	v_cndmask_b32_e32 v3, v3, v10, vcc
	v_xor_b32_e32 v7, s40, v9
	v_xor_b32_e32 v3, v3, v7
	v_sub_co_u32_e32 v12, vcc, v3, v7
                                        ; implicit-def: $vgpr10_vgpr11
.LBB72_29:                              ;   in Loop: Header=BB72_19 Depth=1
	s_andn2_saveexec_b64 s[4:5], s[6:7]
	s_cbranch_execz .LBB72_31
; %bb.30:                               ;   in Loop: Header=BB72_19 Depth=1
	v_cvt_f32_u32_e32 v3, s33
	s_sub_i32 s6, 0, s33
	v_rcp_iflag_f32_e32 v3, v3
	v_mul_f32_e32 v3, 0x4f7ffffe, v3
	v_cvt_u32_f32_e32 v3, v3
	v_mul_lo_u32 v7, s6, v3
	v_mul_hi_u32 v7, v3, v7
	v_add_u32_e32 v3, v3, v7
	v_mul_hi_u32 v3, v10, v3
	v_mul_lo_u32 v7, v3, s33
	v_sub_u32_e32 v7, v10, v7
	v_add_u32_e32 v9, 1, v3
	v_subrev_u32_e32 v10, s33, v7
	v_cmp_le_u32_e32 vcc, s33, v7
	v_cndmask_b32_e32 v7, v7, v10, vcc
	v_cndmask_b32_e32 v3, v3, v9, vcc
	v_add_u32_e32 v9, 1, v3
	v_cmp_le_u32_e32 vcc, s33, v7
	v_cndmask_b32_e32 v12, v3, v9, vcc
.LBB72_31:                              ;   in Loop: Header=BB72_19 Depth=1
	s_or_b64 exec, exec, s[4:5]
	v_mul_lo_u32 v3, v5, s24
	v_mul_lo_u32 v7, v4, s25
	v_mad_u64_u32 v[10:11], s[4:5], v4, s24, 0
	v_add3_u32 v11, v11, v7, v3
	v_lshlrev_b64 v[10:11], 1, v[10:11]
	v_mov_b32_e32 v3, s23
	v_add_co_u32_e32 v10, vcc, s22, v10
	v_addc_co_u32_e32 v11, vcc, v3, v11, vcc
	global_load_ushort v3, v[10:11], off
	v_ashrrev_i32_e32 v13, 31, v12
	v_cmp_eq_u64_e32 vcc, s[8:9], v[12:13]
	v_subbrev_co_u32_e32 v7, vcc, 0, v12, vcc
	v_lshl_add_u32 v9, v7, 1, 0
	v_and_b32_e32 v7, -3, v9
	ds_read_b32 v7, v7
	v_and_b32_e32 v10, 2, v9
	v_mov_b32_e32 v11, v6
	v_sub_u32_e32 v12, 0, v10
	s_mov_b64 s[40:41], 0
	v_cmp_eq_u64_e32 vcc, 0, v[10:11]
	v_cmp_ne_u32_e64 s[4:5], 0, v10
	v_add_u32_e32 v9, v9, v12
	s_branch .LBB72_33
.LBB72_32:                              ;   in Loop: Header=BB72_33 Depth=2
	s_or_b64 exec, exec, s[6:7]
	ds_cmpst_rtn_b32 v10, v9, v7, v10
	s_waitcnt lgkmcnt(0)
	v_cmp_eq_u32_e64 s[6:7], v7, v10
	s_or_b64 s[40:41], s[6:7], s[40:41]
	v_mov_b32_e32 v7, v10
	s_andn2_b64 exec, exec, s[40:41]
	s_cbranch_execz .LBB72_18
.LBB72_33:                              ;   Parent Loop BB72_19 Depth=1
                                        ; =>  This Inner Loop Header: Depth=2
	s_waitcnt lgkmcnt(0)
	v_lshrrev_b32_e32 v10, 16, v7
	v_cndmask_b32_e32 v10, v10, v7, vcc
	s_waitcnt vmcnt(0)
	v_add_u16_e32 v11, v3, v10
                                        ; implicit-def: $vgpr10
	s_and_saveexec_b64 s[6:7], s[4:5]
	s_xor_b64 s[6:7], exec, s[6:7]
; %bb.34:                               ;   in Loop: Header=BB72_33 Depth=2
	v_and_b32_e32 v10, 0xffff, v7
	v_lshl_or_b32 v10, v11, 16, v10
                                        ; implicit-def: $vgpr11
; %bb.35:                               ;   in Loop: Header=BB72_33 Depth=2
	s_andn2_saveexec_b64 s[6:7], s[6:7]
	s_cbranch_execz .LBB72_32
; %bb.36:                               ;   in Loop: Header=BB72_33 Depth=2
	v_and_or_b32 v10, v7, s48, v11
	s_branch .LBB72_32
.LBB72_37:
	s_or_b64 exec, exec, s[26:27]
; %bb.38:
	s_barrier
	s_and_saveexec_b64 s[2:3], s[0:1]
	s_cbranch_execz .LBB72_47
; %bb.39:
	v_mov_b32_e32 v5, 0
	s_mov_b64 s[4:5], 0
	v_mov_b32_e32 v3, s17
	s_mov_b32 s8, 0xffff0000
	s_branch .LBB72_41
.LBB72_40:                              ;   in Loop: Header=BB72_41 Depth=1
	s_or_b64 exec, exec, s[6:7]
	v_add_co_u32_e32 v0, vcc, v0, v2
	v_addc_co_u32_e32 v1, vcc, 0, v1, vcc
	v_cmp_le_i64_e32 vcc, s[18:19], v[0:1]
	s_or_b64 s[4:5], vcc, s[4:5]
	s_andn2_b64 exec, exec, s[4:5]
	s_cbranch_execz .LBB72_47
.LBB72_41:                              ; =>This Loop Header: Depth=1
                                        ;     Child Loop BB72_43 Depth 2
	v_mul_lo_u32 v4, v1, s20
	v_mul_lo_u32 v8, v0, s21
	v_mad_u64_u32 v[6:7], s[0:1], v0, s20, 0
	v_add3_u32 v7, v7, v8, v4
	v_lshlrev_b64 v[6:7], 1, v[6:7]
	v_add_co_u32_e32 v4, vcc, s16, v6
	v_addc_co_u32_e32 v7, vcc, v3, v7, vcc
	v_and_b32_e32 v6, -3, v4
	global_load_dword v9, v[6:7], off
	v_lshl_add_u32 v8, v0, 1, 0
	ds_read_u16 v10, v8
	v_and_b32_e32 v4, 2, v4
	v_cmp_eq_u64_e32 vcc, 0, v[4:5]
	v_cmp_ne_u32_e64 s[0:1], 0, v4
	s_mov_b64 s[6:7], 0
	s_branch .LBB72_43
.LBB72_42:                              ;   in Loop: Header=BB72_43 Depth=2
	s_or_b64 exec, exec, s[2:3]
	global_atomic_cmpswap v4, v[6:7], v[8:9], off glc
	s_waitcnt vmcnt(0)
	v_cmp_eq_u32_e64 s[2:3], v9, v4
	s_or_b64 s[6:7], s[2:3], s[6:7]
	v_mov_b32_e32 v9, v4
	s_andn2_b64 exec, exec, s[6:7]
	s_cbranch_execz .LBB72_40
.LBB72_43:                              ;   Parent Loop BB72_41 Depth=1
                                        ; =>  This Inner Loop Header: Depth=2
	s_waitcnt vmcnt(0)
	v_lshrrev_b32_e32 v4, 16, v9
	v_cndmask_b32_e32 v4, v4, v9, vcc
	s_waitcnt lgkmcnt(0)
	v_add_u16_e32 v4, v10, v4
                                        ; kill: def $vgpr8 killed $sgpr0 killed $exec
	s_and_saveexec_b64 s[2:3], s[0:1]
	s_xor_b64 s[2:3], exec, s[2:3]
; %bb.44:                               ;   in Loop: Header=BB72_43 Depth=2
	v_and_b32_e32 v8, 0xffff, v9
	v_lshl_or_b32 v8, v4, 16, v8
                                        ; implicit-def: $vgpr4
; %bb.45:                               ;   in Loop: Header=BB72_43 Depth=2
	s_andn2_saveexec_b64 s[2:3], s[2:3]
	s_cbranch_execz .LBB72_42
; %bb.46:                               ;   in Loop: Header=BB72_43 Depth=2
	v_and_or_b32 v8, v9, s8, v4
	s_branch .LBB72_42
.LBB72_47:
	s_endpgm
	.section	.rodata,"a",@progbits
	.p2align	6, 0x0
	.amdhsa_kernel _ZN2at4cuda17kernelHistogram1DIsslLi1ELi2ELin1ELNS0_23CUDAHistogramMemoryTypeE0EZNS0_21CUDA_tensor_histogramIssLb0EEEbNS_6TensorES4_S4_lNS_14AccumulateTypeIT0_Lb1EE4typeES8_NS0_13TensorArgTypeES9_S9_EUllE_EEvNS0_6detail10TensorInfoIT_T1_EESF_NSC_IKS6_SE_EElS8_S8_SE_T6_
		.amdhsa_group_segment_fixed_size 0
		.amdhsa_private_segment_fixed_size 0
		.amdhsa_kernarg_size 1952
		.amdhsa_user_sgpr_count 6
		.amdhsa_user_sgpr_private_segment_buffer 1
		.amdhsa_user_sgpr_dispatch_ptr 0
		.amdhsa_user_sgpr_queue_ptr 0
		.amdhsa_user_sgpr_kernarg_segment_ptr 1
		.amdhsa_user_sgpr_dispatch_id 0
		.amdhsa_user_sgpr_flat_scratch_init 0
		.amdhsa_user_sgpr_kernarg_preload_length 0
		.amdhsa_user_sgpr_kernarg_preload_offset 0
		.amdhsa_user_sgpr_private_segment_size 0
		.amdhsa_uses_dynamic_stack 0
		.amdhsa_system_sgpr_private_segment_wavefront_offset 0
		.amdhsa_system_sgpr_workgroup_id_x 1
		.amdhsa_system_sgpr_workgroup_id_y 0
		.amdhsa_system_sgpr_workgroup_id_z 0
		.amdhsa_system_sgpr_workgroup_info 0
		.amdhsa_system_vgpr_workitem_id 0
		.amdhsa_next_free_vgpr 22
		.amdhsa_next_free_sgpr 50
		.amdhsa_accum_offset 24
		.amdhsa_reserve_vcc 1
		.amdhsa_reserve_flat_scratch 0
		.amdhsa_float_round_mode_32 0
		.amdhsa_float_round_mode_16_64 0
		.amdhsa_float_denorm_mode_32 3
		.amdhsa_float_denorm_mode_16_64 3
		.amdhsa_dx10_clamp 1
		.amdhsa_ieee_mode 1
		.amdhsa_fp16_overflow 0
		.amdhsa_tg_split 0
		.amdhsa_exception_fp_ieee_invalid_op 0
		.amdhsa_exception_fp_denorm_src 0
		.amdhsa_exception_fp_ieee_div_zero 0
		.amdhsa_exception_fp_ieee_overflow 0
		.amdhsa_exception_fp_ieee_underflow 0
		.amdhsa_exception_fp_ieee_inexact 0
		.amdhsa_exception_int_div_zero 0
	.end_amdhsa_kernel
	.section	.text._ZN2at4cuda17kernelHistogram1DIsslLi1ELi2ELin1ELNS0_23CUDAHistogramMemoryTypeE0EZNS0_21CUDA_tensor_histogramIssLb0EEEbNS_6TensorES4_S4_lNS_14AccumulateTypeIT0_Lb1EE4typeES8_NS0_13TensorArgTypeES9_S9_EUllE_EEvNS0_6detail10TensorInfoIT_T1_EESF_NSC_IKS6_SE_EElS8_S8_SE_T6_,"axG",@progbits,_ZN2at4cuda17kernelHistogram1DIsslLi1ELi2ELin1ELNS0_23CUDAHistogramMemoryTypeE0EZNS0_21CUDA_tensor_histogramIssLb0EEEbNS_6TensorES4_S4_lNS_14AccumulateTypeIT0_Lb1EE4typeES8_NS0_13TensorArgTypeES9_S9_EUllE_EEvNS0_6detail10TensorInfoIT_T1_EESF_NSC_IKS6_SE_EElS8_S8_SE_T6_,comdat
.Lfunc_end72:
	.size	_ZN2at4cuda17kernelHistogram1DIsslLi1ELi2ELin1ELNS0_23CUDAHistogramMemoryTypeE0EZNS0_21CUDA_tensor_histogramIssLb0EEEbNS_6TensorES4_S4_lNS_14AccumulateTypeIT0_Lb1EE4typeES8_NS0_13TensorArgTypeES9_S9_EUllE_EEvNS0_6detail10TensorInfoIT_T1_EESF_NSC_IKS6_SE_EElS8_S8_SE_T6_, .Lfunc_end72-_ZN2at4cuda17kernelHistogram1DIsslLi1ELi2ELin1ELNS0_23CUDAHistogramMemoryTypeE0EZNS0_21CUDA_tensor_histogramIssLb0EEEbNS_6TensorES4_S4_lNS_14AccumulateTypeIT0_Lb1EE4typeES8_NS0_13TensorArgTypeES9_S9_EUllE_EEvNS0_6detail10TensorInfoIT_T1_EESF_NSC_IKS6_SE_EElS8_S8_SE_T6_
                                        ; -- End function
	.section	.AMDGPU.csdata,"",@progbits
; Kernel info:
; codeLenInByte = 3712
; NumSgprs: 54
; NumVgprs: 22
; NumAgprs: 0
; TotalNumVgprs: 22
; ScratchSize: 0
; MemoryBound: 0
; FloatMode: 240
; IeeeMode: 1
; LDSByteSize: 0 bytes/workgroup (compile time only)
; SGPRBlocks: 6
; VGPRBlocks: 2
; NumSGPRsForWavesPerEU: 54
; NumVGPRsForWavesPerEU: 22
; AccumOffset: 24
; Occupancy: 8
; WaveLimiterHint : 1
; COMPUTE_PGM_RSRC2:SCRATCH_EN: 0
; COMPUTE_PGM_RSRC2:USER_SGPR: 6
; COMPUTE_PGM_RSRC2:TRAP_HANDLER: 0
; COMPUTE_PGM_RSRC2:TGID_X_EN: 1
; COMPUTE_PGM_RSRC2:TGID_Y_EN: 0
; COMPUTE_PGM_RSRC2:TGID_Z_EN: 0
; COMPUTE_PGM_RSRC2:TIDIG_COMP_CNT: 0
; COMPUTE_PGM_RSRC3_GFX90A:ACCUM_OFFSET: 5
; COMPUTE_PGM_RSRC3_GFX90A:TG_SPLIT: 0
	.section	.text._ZN2at4cuda17kernelHistogram1DIsslLi1ELi2ELin1ELNS0_23CUDAHistogramMemoryTypeE1EZNS0_21CUDA_tensor_histogramIssLb0EEEbNS_6TensorES4_S4_lNS_14AccumulateTypeIT0_Lb1EE4typeES8_NS0_13TensorArgTypeES9_S9_EUllE_EEvNS0_6detail10TensorInfoIT_T1_EESF_NSC_IKS6_SE_EElS8_S8_SE_T6_,"axG",@progbits,_ZN2at4cuda17kernelHistogram1DIsslLi1ELi2ELin1ELNS0_23CUDAHistogramMemoryTypeE1EZNS0_21CUDA_tensor_histogramIssLb0EEEbNS_6TensorES4_S4_lNS_14AccumulateTypeIT0_Lb1EE4typeES8_NS0_13TensorArgTypeES9_S9_EUllE_EEvNS0_6detail10TensorInfoIT_T1_EESF_NSC_IKS6_SE_EElS8_S8_SE_T6_,comdat
	.protected	_ZN2at4cuda17kernelHistogram1DIsslLi1ELi2ELin1ELNS0_23CUDAHistogramMemoryTypeE1EZNS0_21CUDA_tensor_histogramIssLb0EEEbNS_6TensorES4_S4_lNS_14AccumulateTypeIT0_Lb1EE4typeES8_NS0_13TensorArgTypeES9_S9_EUllE_EEvNS0_6detail10TensorInfoIT_T1_EESF_NSC_IKS6_SE_EElS8_S8_SE_T6_ ; -- Begin function _ZN2at4cuda17kernelHistogram1DIsslLi1ELi2ELin1ELNS0_23CUDAHistogramMemoryTypeE1EZNS0_21CUDA_tensor_histogramIssLb0EEEbNS_6TensorES4_S4_lNS_14AccumulateTypeIT0_Lb1EE4typeES8_NS0_13TensorArgTypeES9_S9_EUllE_EEvNS0_6detail10TensorInfoIT_T1_EESF_NSC_IKS6_SE_EElS8_S8_SE_T6_
	.globl	_ZN2at4cuda17kernelHistogram1DIsslLi1ELi2ELin1ELNS0_23CUDAHistogramMemoryTypeE1EZNS0_21CUDA_tensor_histogramIssLb0EEEbNS_6TensorES4_S4_lNS_14AccumulateTypeIT0_Lb1EE4typeES8_NS0_13TensorArgTypeES9_S9_EUllE_EEvNS0_6detail10TensorInfoIT_T1_EESF_NSC_IKS6_SE_EElS8_S8_SE_T6_
	.p2align	8
	.type	_ZN2at4cuda17kernelHistogram1DIsslLi1ELi2ELin1ELNS0_23CUDAHistogramMemoryTypeE1EZNS0_21CUDA_tensor_histogramIssLb0EEEbNS_6TensorES4_S4_lNS_14AccumulateTypeIT0_Lb1EE4typeES8_NS0_13TensorArgTypeES9_S9_EUllE_EEvNS0_6detail10TensorInfoIT_T1_EESF_NSC_IKS6_SE_EElS8_S8_SE_T6_,@function
_ZN2at4cuda17kernelHistogram1DIsslLi1ELi2ELin1ELNS0_23CUDAHistogramMemoryTypeE1EZNS0_21CUDA_tensor_histogramIssLb0EEEbNS_6TensorES4_S4_lNS_14AccumulateTypeIT0_Lb1EE4typeES8_NS0_13TensorArgTypeES9_S9_EUllE_EEvNS0_6detail10TensorInfoIT_T1_EESF_NSC_IKS6_SE_EElS8_S8_SE_T6_: ; @_ZN2at4cuda17kernelHistogram1DIsslLi1ELi2ELin1ELNS0_23CUDAHistogramMemoryTypeE1EZNS0_21CUDA_tensor_histogramIssLb0EEEbNS_6TensorES4_S4_lNS_14AccumulateTypeIT0_Lb1EE4typeES8_NS0_13TensorArgTypeES9_S9_EUllE_EEvNS0_6detail10TensorInfoIT_T1_EESF_NSC_IKS6_SE_EElS8_S8_SE_T6_
; %bb.0:
	s_load_dword s2, s[4:5], 0x6ac
	s_load_dwordx8 s[8:15], s[4:5], 0x4e0
	s_add_u32 s0, s4, 0x6a0
	s_addc_u32 s1, s5, 0
	v_mov_b32_e32 v2, 0
	s_waitcnt lgkmcnt(0)
	s_and_b32 s2, s2, 0xffff
	s_mul_i32 s6, s6, s2
	v_add_u32_e32 v0, s6, v0
	v_mov_b32_e32 v1, v2
	v_cmp_gt_i64_e32 vcc, s[14:15], v[0:1]
	s_and_saveexec_b64 s[6:7], vcc
	s_cbranch_execz .LBB73_21
; %bb.1:
	s_load_dwordx2 s[6:7], s[4:5], 0x5d0
	s_load_dwordx2 s[16:17], s[4:5], 0x500
	s_load_dword s3, s[4:5], 0x4d8
	s_load_dwordx2 s[18:19], s[4:5], 0x0
	s_load_dwordx2 s[20:21], s[4:5], 0xd0
	s_load_dword s28, s[0:1], 0x0
	s_add_u32 s26, s4, 0x340
	s_addc_u32 s27, s5, 0
	s_mov_b32 s42, 0
	s_waitcnt lgkmcnt(0)
	s_cmp_gt_i32 s3, 1
	s_cselect_b64 s[0:1], -1, 0
	s_sub_u32 s33, s12, s10
	s_subb_u32 s40, s13, s11
	s_mul_i32 s41, s28, s2
	s_add_i32 s43, s3, 1
	s_add_i32 s2, s3, -1
	s_mov_b32 s3, s42
	s_load_dwordx2 s[22:23], s[4:5], 0x410
	s_load_dwordx2 s[24:25], s[4:5], 0x340
	s_lshl_b64 s[2:3], s[2:3], 3
	s_add_u32 s2, s2, s26
	s_addc_u32 s3, s3, s27
	s_add_u32 s26, s2, 8
	v_cndmask_b32_e64 v3, 0, 1, s[0:1]
	s_addc_u32 s27, s3, 0
	s_mov_b64 s[28:29], 0
	s_mov_b32 s44, 0xffff0000
	v_cmp_ne_u32_e64 s[0:1], 1, v3
	s_branch .LBB73_3
.LBB73_2:                               ;   in Loop: Header=BB73_3 Depth=1
	s_or_b64 exec, exec, s[30:31]
	v_mov_b32_e32 v3, s42
	v_add_co_u32_e32 v0, vcc, s41, v0
	v_addc_co_u32_e32 v1, vcc, v1, v3, vcc
	v_cmp_le_i64_e32 vcc, s[14:15], v[0:1]
	s_or_b64 s[28:29], vcc, s[28:29]
	s_andn2_b64 exec, exec, s[28:29]
	s_cbranch_execz .LBB73_21
.LBB73_3:                               ; =>This Loop Header: Depth=1
                                        ;     Child Loop BB73_4 Depth 2
                                        ;     Child Loop BB73_17 Depth 2
	s_and_b64 vcc, exec, s[0:1]
	v_pk_mov_b32 v[4:5], 0, 0
	s_mov_b64 s[4:5], s[26:27]
	s_mov_b32 s45, s43
	v_pk_mov_b32 v[6:7], v[0:1], v[0:1] op_sel:[0,1]
	v_pk_mov_b32 v[8:9], v[0:1], v[0:1] op_sel:[0,1]
	s_cbranch_vccnz .LBB73_10
.LBB73_4:                               ;   Parent Loop BB73_3 Depth=1
                                        ; =>  This Inner Loop Header: Depth=2
	s_load_dwordx2 s[30:31], s[4:5], 0x0
                                        ; implicit-def: $vgpr8_vgpr9
	s_waitcnt lgkmcnt(0)
	v_or_b32_e32 v3, s31, v7
	v_cmp_ne_u64_e32 vcc, 0, v[2:3]
	s_and_saveexec_b64 s[2:3], vcc
	s_xor_b64 s[34:35], exec, s[2:3]
	s_cbranch_execz .LBB73_6
; %bb.5:                                ;   in Loop: Header=BB73_4 Depth=2
	s_ashr_i32 s36, s31, 31
	s_add_u32 s2, s30, s36
	s_mov_b32 s37, s36
	s_addc_u32 s3, s31, s36
	s_xor_b64 s[38:39], s[2:3], s[36:37]
	v_cvt_f32_u32_e32 v3, s38
	v_cvt_f32_u32_e32 v8, s39
	s_sub_u32 s2, 0, s38
	s_subb_u32 s3, 0, s39
	v_mac_f32_e32 v3, 0x4f800000, v8
	v_rcp_f32_e32 v3, v3
	v_mul_f32_e32 v3, 0x5f7ffffc, v3
	v_mul_f32_e32 v8, 0x2f800000, v3
	v_trunc_f32_e32 v8, v8
	v_mac_f32_e32 v3, 0xcf800000, v8
	v_cvt_u32_f32_e32 v8, v8
	v_cvt_u32_f32_e32 v3, v3
	v_mul_lo_u32 v9, s2, v8
	v_mul_hi_u32 v11, s2, v3
	v_mul_lo_u32 v10, s3, v3
	v_add_u32_e32 v9, v11, v9
	v_mul_lo_u32 v12, s2, v3
	v_add_u32_e32 v9, v9, v10
	v_mul_lo_u32 v11, v3, v9
	v_mul_hi_u32 v13, v3, v12
	v_mul_hi_u32 v10, v3, v9
	v_add_co_u32_e32 v11, vcc, v13, v11
	v_addc_co_u32_e32 v10, vcc, 0, v10, vcc
	v_mul_hi_u32 v14, v8, v12
	v_mul_lo_u32 v12, v8, v12
	v_add_co_u32_e32 v11, vcc, v11, v12
	v_mul_hi_u32 v13, v8, v9
	v_addc_co_u32_e32 v10, vcc, v10, v14, vcc
	v_addc_co_u32_e32 v11, vcc, 0, v13, vcc
	v_mul_lo_u32 v9, v8, v9
	v_add_co_u32_e32 v9, vcc, v10, v9
	v_addc_co_u32_e32 v10, vcc, 0, v11, vcc
	v_add_co_u32_e32 v3, vcc, v3, v9
	v_addc_co_u32_e32 v8, vcc, v8, v10, vcc
	v_mul_lo_u32 v9, s2, v8
	v_mul_hi_u32 v10, s2, v3
	v_add_u32_e32 v9, v10, v9
	v_mul_lo_u32 v10, s3, v3
	v_add_u32_e32 v9, v9, v10
	v_mul_lo_u32 v11, s2, v3
	v_mul_hi_u32 v12, v8, v11
	v_mul_lo_u32 v13, v8, v11
	v_mul_lo_u32 v15, v3, v9
	v_mul_hi_u32 v11, v3, v11
	v_mul_hi_u32 v14, v3, v9
	v_add_co_u32_e32 v11, vcc, v11, v15
	v_addc_co_u32_e32 v14, vcc, 0, v14, vcc
	v_add_co_u32_e32 v11, vcc, v11, v13
	v_mul_hi_u32 v10, v8, v9
	v_addc_co_u32_e32 v11, vcc, v14, v12, vcc
	v_addc_co_u32_e32 v10, vcc, 0, v10, vcc
	v_mul_lo_u32 v9, v8, v9
	v_add_co_u32_e32 v9, vcc, v11, v9
	v_addc_co_u32_e32 v10, vcc, 0, v10, vcc
	v_add_co_u32_e32 v3, vcc, v3, v9
	v_addc_co_u32_e32 v10, vcc, v8, v10, vcc
	v_ashrrev_i32_e32 v12, 31, v7
	v_add_co_u32_e32 v8, vcc, v6, v12
	v_addc_co_u32_e32 v9, vcc, v7, v12, vcc
	v_xor_b32_e32 v14, v8, v12
	v_xor_b32_e32 v13, v9, v12
	v_mad_u64_u32 v[8:9], s[2:3], v14, v10, 0
	v_mul_hi_u32 v11, v14, v3
	v_add_co_u32_e32 v15, vcc, v11, v8
	v_addc_co_u32_e32 v16, vcc, 0, v9, vcc
	v_mad_u64_u32 v[8:9], s[2:3], v13, v10, 0
	v_mad_u64_u32 v[10:11], s[2:3], v13, v3, 0
	v_add_co_u32_e32 v3, vcc, v15, v10
	v_addc_co_u32_e32 v3, vcc, v16, v11, vcc
	v_addc_co_u32_e32 v9, vcc, 0, v9, vcc
	v_add_co_u32_e32 v3, vcc, v3, v8
	v_addc_co_u32_e32 v10, vcc, 0, v9, vcc
	v_mul_lo_u32 v11, s39, v3
	v_mul_lo_u32 v15, s38, v10
	v_mad_u64_u32 v[8:9], s[2:3], s38, v3, 0
	v_add3_u32 v9, v9, v15, v11
	v_sub_u32_e32 v11, v13, v9
	v_mov_b32_e32 v15, s39
	v_sub_co_u32_e32 v8, vcc, v14, v8
	v_subb_co_u32_e64 v11, s[2:3], v11, v15, vcc
	v_subrev_co_u32_e64 v14, s[2:3], s38, v8
	v_subbrev_co_u32_e64 v11, s[2:3], 0, v11, s[2:3]
	v_cmp_le_u32_e64 s[2:3], s39, v11
	v_cndmask_b32_e64 v15, 0, -1, s[2:3]
	v_cmp_le_u32_e64 s[2:3], s38, v14
	v_cndmask_b32_e64 v14, 0, -1, s[2:3]
	v_cmp_eq_u32_e64 s[2:3], s39, v11
	v_cndmask_b32_e64 v11, v15, v14, s[2:3]
	v_add_co_u32_e64 v14, s[2:3], 2, v3
	v_subb_co_u32_e32 v9, vcc, v13, v9, vcc
	v_addc_co_u32_e64 v15, s[2:3], 0, v10, s[2:3]
	v_cmp_le_u32_e32 vcc, s39, v9
	v_add_co_u32_e64 v16, s[2:3], 1, v3
	v_cndmask_b32_e64 v13, 0, -1, vcc
	v_cmp_le_u32_e32 vcc, s38, v8
	v_addc_co_u32_e64 v17, s[2:3], 0, v10, s[2:3]
	v_cndmask_b32_e64 v8, 0, -1, vcc
	v_cmp_eq_u32_e32 vcc, s39, v9
	v_cmp_ne_u32_e64 s[2:3], 0, v11
	v_cndmask_b32_e32 v8, v13, v8, vcc
	v_cmp_ne_u32_e32 vcc, 0, v8
	v_cndmask_b32_e64 v9, v16, v14, s[2:3]
	v_cndmask_b32_e64 v11, v17, v15, s[2:3]
	v_cndmask_b32_e32 v3, v3, v9, vcc
	v_xor_b32_e32 v9, s36, v12
	v_cndmask_b32_e32 v8, v10, v11, vcc
	v_xor_b32_e32 v3, v3, v9
	v_xor_b32_e32 v10, v8, v9
	v_sub_co_u32_e32 v8, vcc, v3, v9
	v_subb_co_u32_e32 v9, vcc, v10, v9, vcc
.LBB73_6:                               ;   in Loop: Header=BB73_4 Depth=2
	s_andn2_saveexec_b64 s[2:3], s[34:35]
	s_cbranch_execz .LBB73_8
; %bb.7:                                ;   in Loop: Header=BB73_4 Depth=2
	v_cvt_f32_u32_e32 v3, s30
	s_sub_i32 s34, 0, s30
	v_rcp_iflag_f32_e32 v3, v3
	v_mul_f32_e32 v3, 0x4f7ffffe, v3
	v_cvt_u32_f32_e32 v3, v3
	v_mul_lo_u32 v8, s34, v3
	v_mul_hi_u32 v8, v3, v8
	v_add_u32_e32 v3, v3, v8
	v_mul_hi_u32 v3, v6, v3
	v_mul_lo_u32 v8, v3, s30
	v_sub_u32_e32 v8, v6, v8
	v_add_u32_e32 v9, 1, v3
	v_subrev_u32_e32 v10, s30, v8
	v_cmp_le_u32_e32 vcc, s30, v8
	v_cndmask_b32_e32 v8, v8, v10, vcc
	v_cndmask_b32_e32 v3, v3, v9, vcc
	v_add_u32_e32 v9, 1, v3
	v_cmp_le_u32_e32 vcc, s30, v8
	v_cndmask_b32_e32 v8, v3, v9, vcc
	v_mov_b32_e32 v9, v2
.LBB73_8:                               ;   in Loop: Header=BB73_4 Depth=2
	s_or_b64 exec, exec, s[2:3]
	v_mad_u64_u32 v[10:11], s[2:3], v8, s30, 0
	s_load_dwordx2 s[2:3], s[4:5], 0xc8
	v_mul_lo_u32 v3, v9, s30
	v_mul_lo_u32 v12, v8, s31
	v_add3_u32 v3, v11, v12, v3
	v_sub_co_u32_e32 v6, vcc, v6, v10
	s_add_i32 s45, s45, -1
	v_subb_co_u32_e32 v3, vcc, v7, v3, vcc
	s_add_u32 s4, s4, -8
	s_waitcnt lgkmcnt(0)
	v_mul_lo_u32 v3, s2, v3
	v_mul_lo_u32 v7, s3, v6
	v_mad_u64_u32 v[4:5], s[2:3], s2, v6, v[4:5]
	s_addc_u32 s5, s5, -1
	s_cmp_gt_u32 s45, 2
	v_add3_u32 v5, v7, v5, v3
	s_cbranch_scc0 .LBB73_10
; %bb.9:                                ;   in Loop: Header=BB73_4 Depth=2
	v_pk_mov_b32 v[6:7], v[8:9], v[8:9] op_sel:[0,1]
	s_branch .LBB73_4
.LBB73_10:                              ;   in Loop: Header=BB73_3 Depth=1
	s_waitcnt lgkmcnt(0)
	v_mul_lo_u32 v3, s23, v8
	v_mul_lo_u32 v9, s22, v9
	v_mad_u64_u32 v[6:7], s[2:3], s22, v8, 0
	v_add3_u32 v7, v7, v9, v3
	v_lshlrev_b64 v[6:7], 1, v[6:7]
	v_mov_b32_e32 v3, s25
	v_add_co_u32_e32 v6, vcc, s24, v6
	v_addc_co_u32_e32 v3, vcc, v3, v7, vcc
	v_lshlrev_b64 v[4:5], 1, v[4:5]
	v_add_co_u32_e32 v4, vcc, v6, v4
	v_addc_co_u32_e32 v5, vcc, v3, v5, vcc
	global_load_ushort v3, v[4:5], off
	s_waitcnt vmcnt(0)
	v_bfe_i32 v4, v3, 0, 16
	v_ashrrev_i32_e32 v5, 31, v4
	v_cmp_le_i64_e32 vcc, s[10:11], v[4:5]
	v_cmp_ge_i64_e64 s[2:3], s[12:13], v[4:5]
	s_and_b64 s[2:3], vcc, s[2:3]
	s_and_saveexec_b64 s[30:31], s[2:3]
	s_cbranch_execz .LBB73_2
; %bb.11:                               ;   in Loop: Header=BB73_3 Depth=1
	v_mov_b32_e32 v3, s11
	v_subrev_co_u32_e32 v4, vcc, s10, v4
	v_subb_co_u32_e32 v3, vcc, v5, v3, vcc
	v_mul_lo_u32 v3, v3, s8
	v_mul_lo_u32 v6, v4, s9
	v_mad_u64_u32 v[4:5], s[2:3], v4, s8, 0
	v_add3_u32 v5, v5, v6, v3
	v_or_b32_e32 v3, s40, v5
	v_cmp_ne_u64_e32 vcc, 0, v[2:3]
                                        ; implicit-def: $vgpr6_vgpr7
	s_and_saveexec_b64 s[2:3], vcc
	s_xor_b64 s[4:5], exec, s[2:3]
	s_cbranch_execz .LBB73_13
; %bb.12:                               ;   in Loop: Header=BB73_3 Depth=1
	s_ashr_i32 s34, s40, 31
	s_add_u32 s2, s33, s34
	s_mov_b32 s35, s34
	s_addc_u32 s3, s40, s34
	s_xor_b64 s[36:37], s[2:3], s[34:35]
	v_cvt_f32_u32_e32 v3, s36
	v_cvt_f32_u32_e32 v6, s37
	s_sub_u32 s2, 0, s36
	s_subb_u32 s3, 0, s37
	v_mac_f32_e32 v3, 0x4f800000, v6
	v_rcp_f32_e32 v3, v3
	v_mul_f32_e32 v3, 0x5f7ffffc, v3
	v_mul_f32_e32 v6, 0x2f800000, v3
	v_trunc_f32_e32 v6, v6
	v_mac_f32_e32 v3, 0xcf800000, v6
	v_cvt_u32_f32_e32 v6, v6
	v_cvt_u32_f32_e32 v3, v3
	v_mul_lo_u32 v7, s2, v6
	v_mul_hi_u32 v9, s2, v3
	v_mul_lo_u32 v8, s3, v3
	v_add_u32_e32 v7, v9, v7
	v_mul_lo_u32 v10, s2, v3
	v_add_u32_e32 v7, v7, v8
	v_mul_lo_u32 v9, v3, v7
	v_mul_hi_u32 v11, v3, v10
	v_mul_hi_u32 v8, v3, v7
	v_add_co_u32_e32 v9, vcc, v11, v9
	v_addc_co_u32_e32 v8, vcc, 0, v8, vcc
	v_mul_hi_u32 v12, v6, v10
	v_mul_lo_u32 v10, v6, v10
	v_add_co_u32_e32 v9, vcc, v9, v10
	v_mul_hi_u32 v11, v6, v7
	v_addc_co_u32_e32 v8, vcc, v8, v12, vcc
	v_addc_co_u32_e32 v9, vcc, 0, v11, vcc
	v_mul_lo_u32 v7, v6, v7
	v_add_co_u32_e32 v7, vcc, v8, v7
	v_addc_co_u32_e32 v8, vcc, 0, v9, vcc
	v_add_co_u32_e32 v3, vcc, v3, v7
	v_addc_co_u32_e32 v6, vcc, v6, v8, vcc
	v_mul_lo_u32 v7, s2, v6
	v_mul_hi_u32 v8, s2, v3
	v_add_u32_e32 v7, v8, v7
	v_mul_lo_u32 v8, s3, v3
	v_add_u32_e32 v7, v7, v8
	v_mul_lo_u32 v9, s2, v3
	v_mul_hi_u32 v10, v6, v9
	v_mul_lo_u32 v11, v6, v9
	v_mul_lo_u32 v13, v3, v7
	v_mul_hi_u32 v9, v3, v9
	v_mul_hi_u32 v12, v3, v7
	v_add_co_u32_e32 v9, vcc, v9, v13
	v_addc_co_u32_e32 v12, vcc, 0, v12, vcc
	v_add_co_u32_e32 v9, vcc, v9, v11
	v_mul_hi_u32 v8, v6, v7
	v_addc_co_u32_e32 v9, vcc, v12, v10, vcc
	v_addc_co_u32_e32 v8, vcc, 0, v8, vcc
	v_mul_lo_u32 v7, v6, v7
	v_add_co_u32_e32 v7, vcc, v9, v7
	v_addc_co_u32_e32 v8, vcc, 0, v8, vcc
	v_add_co_u32_e32 v3, vcc, v3, v7
	v_addc_co_u32_e32 v6, vcc, v6, v8, vcc
	v_ashrrev_i32_e32 v8, 31, v5
	v_add_co_u32_e32 v4, vcc, v4, v8
	v_addc_co_u32_e32 v5, vcc, v5, v8, vcc
	v_xor_b32_e32 v10, v4, v8
	v_xor_b32_e32 v9, v5, v8
	v_mad_u64_u32 v[4:5], s[2:3], v10, v6, 0
	v_mul_hi_u32 v7, v10, v3
	v_add_co_u32_e32 v11, vcc, v7, v4
	v_addc_co_u32_e32 v12, vcc, 0, v5, vcc
	v_mad_u64_u32 v[4:5], s[2:3], v9, v6, 0
	v_mad_u64_u32 v[6:7], s[2:3], v9, v3, 0
	v_add_co_u32_e32 v3, vcc, v11, v6
	v_addc_co_u32_e32 v3, vcc, v12, v7, vcc
	v_addc_co_u32_e32 v5, vcc, 0, v5, vcc
	v_add_co_u32_e32 v3, vcc, v3, v4
	v_addc_co_u32_e32 v4, vcc, 0, v5, vcc
	v_mul_lo_u32 v6, s37, v3
	v_mul_lo_u32 v7, s36, v4
	v_mad_u64_u32 v[4:5], s[2:3], s36, v3, 0
	v_add3_u32 v5, v5, v7, v6
	v_sub_u32_e32 v6, v9, v5
	v_mov_b32_e32 v7, s37
	v_sub_co_u32_e32 v4, vcc, v10, v4
	v_subb_co_u32_e64 v6, s[2:3], v6, v7, vcc
	v_subrev_co_u32_e64 v7, s[2:3], s36, v4
	v_subbrev_co_u32_e64 v6, s[2:3], 0, v6, s[2:3]
	v_cmp_le_u32_e64 s[2:3], s37, v6
	v_subb_co_u32_e32 v5, vcc, v9, v5, vcc
	v_cndmask_b32_e64 v10, 0, -1, s[2:3]
	v_cmp_le_u32_e64 s[2:3], s36, v7
	v_cmp_le_u32_e32 vcc, s37, v5
	v_cndmask_b32_e64 v7, 0, -1, s[2:3]
	v_cmp_eq_u32_e64 s[2:3], s37, v6
	v_cndmask_b32_e64 v9, 0, -1, vcc
	v_cmp_le_u32_e32 vcc, s36, v4
	v_cndmask_b32_e64 v6, v10, v7, s[2:3]
	v_cndmask_b32_e64 v4, 0, -1, vcc
	v_cmp_eq_u32_e32 vcc, s37, v5
	v_add_co_u32_e64 v7, s[2:3], 2, v3
	v_add_co_u32_e64 v10, s[2:3], 1, v3
	v_cndmask_b32_e32 v4, v9, v4, vcc
	v_cmp_ne_u32_e32 vcc, 0, v6
	v_cndmask_b32_e32 v5, v10, v7, vcc
	v_cmp_ne_u32_e32 vcc, 0, v4
	v_cndmask_b32_e32 v3, v3, v5, vcc
	v_xor_b32_e32 v4, s34, v8
	v_xor_b32_e32 v3, v3, v4
	v_sub_co_u32_e32 v6, vcc, v3, v4
                                        ; implicit-def: $vgpr4_vgpr5
.LBB73_13:                              ;   in Loop: Header=BB73_3 Depth=1
	s_andn2_saveexec_b64 s[2:3], s[4:5]
	s_cbranch_execz .LBB73_15
; %bb.14:                               ;   in Loop: Header=BB73_3 Depth=1
	v_cvt_f32_u32_e32 v3, s33
	s_sub_i32 s4, 0, s33
	v_rcp_iflag_f32_e32 v3, v3
	v_mul_f32_e32 v3, 0x4f7ffffe, v3
	v_cvt_u32_f32_e32 v3, v3
	v_mul_lo_u32 v5, s4, v3
	v_mul_hi_u32 v5, v3, v5
	v_add_u32_e32 v3, v3, v5
	v_mul_hi_u32 v3, v4, v3
	v_mul_lo_u32 v5, v3, s33
	v_sub_u32_e32 v4, v4, v5
	v_add_u32_e32 v6, 1, v3
	v_subrev_u32_e32 v5, s33, v4
	v_cmp_le_u32_e32 vcc, s33, v4
	v_cndmask_b32_e32 v4, v4, v5, vcc
	v_cndmask_b32_e32 v3, v3, v6, vcc
	v_add_u32_e32 v5, 1, v3
	v_cmp_le_u32_e32 vcc, s33, v4
	v_cndmask_b32_e32 v6, v3, v5, vcc
.LBB73_15:                              ;   in Loop: Header=BB73_3 Depth=1
	s_or_b64 exec, exec, s[2:3]
	v_ashrrev_i32_e32 v7, 31, v6
	v_cmp_eq_u64_e32 vcc, s[8:9], v[6:7]
	v_cndmask_b32_e64 v3, 0, 1, vcc
	v_sub_co_u32_e32 v3, vcc, v6, v3
	v_subbrev_co_u32_e32 v4, vcc, 0, v7, vcc
	v_mul_lo_u32 v6, v4, s20
	v_mul_lo_u32 v7, v3, s21
	v_mad_u64_u32 v[4:5], s[2:3], v3, s20, 0
	v_add3_u32 v5, v5, v7, v6
	v_lshlrev_b64 v[4:5], 1, v[4:5]
	v_mov_b32_e32 v3, s19
	v_add_co_u32_e32 v8, vcc, s18, v4
	v_addc_co_u32_e32 v5, vcc, v3, v5, vcc
	v_mul_lo_u32 v3, v1, s6
	v_mul_lo_u32 v4, v0, s7
	v_mad_u64_u32 v[6:7], s[2:3], v0, s6, 0
	v_add3_u32 v7, v7, v4, v3
	v_lshlrev_b64 v[6:7], 1, v[6:7]
	v_mov_b32_e32 v3, s17
	v_add_co_u32_e32 v6, vcc, s16, v6
	v_addc_co_u32_e32 v7, vcc, v3, v7, vcc
	v_and_b32_e32 v4, -3, v8
	global_load_ushort v3, v[6:7], off
	v_and_b32_e32 v8, 2, v8
	global_load_dword v7, v[4:5], off
	v_mov_b32_e32 v9, v2
	s_mov_b64 s[34:35], 0
	v_cmp_eq_u64_e32 vcc, 0, v[8:9]
	v_cmp_ne_u32_e64 s[2:3], 0, v8
	s_branch .LBB73_17
.LBB73_16:                              ;   in Loop: Header=BB73_17 Depth=2
	s_or_b64 exec, exec, s[4:5]
	global_atomic_cmpswap v6, v[4:5], v[6:7], off glc
	s_waitcnt vmcnt(0)
	v_cmp_eq_u32_e64 s[4:5], v7, v6
	s_or_b64 s[34:35], s[4:5], s[34:35]
	v_mov_b32_e32 v7, v6
	s_andn2_b64 exec, exec, s[34:35]
	s_cbranch_execz .LBB73_2
.LBB73_17:                              ;   Parent Loop BB73_3 Depth=1
                                        ; =>  This Inner Loop Header: Depth=2
	s_waitcnt vmcnt(0)
	v_lshrrev_b32_e32 v6, 16, v7
	v_cndmask_b32_e32 v6, v6, v7, vcc
	v_add_u16_e32 v8, v3, v6
	s_and_saveexec_b64 s[4:5], s[2:3]
	s_xor_b64 s[4:5], exec, s[4:5]
; %bb.18:                               ;   in Loop: Header=BB73_17 Depth=2
	v_and_b32_e32 v6, 0xffff, v7
	v_lshl_or_b32 v6, v8, 16, v6
                                        ; implicit-def: $vgpr8
; %bb.19:                               ;   in Loop: Header=BB73_17 Depth=2
	s_andn2_saveexec_b64 s[4:5], s[4:5]
	s_cbranch_execz .LBB73_16
; %bb.20:                               ;   in Loop: Header=BB73_17 Depth=2
	v_and_or_b32 v6, v7, s44, v8
	s_branch .LBB73_16
.LBB73_21:
	s_endpgm
	.section	.rodata,"a",@progbits
	.p2align	6, 0x0
	.amdhsa_kernel _ZN2at4cuda17kernelHistogram1DIsslLi1ELi2ELin1ELNS0_23CUDAHistogramMemoryTypeE1EZNS0_21CUDA_tensor_histogramIssLb0EEEbNS_6TensorES4_S4_lNS_14AccumulateTypeIT0_Lb1EE4typeES8_NS0_13TensorArgTypeES9_S9_EUllE_EEvNS0_6detail10TensorInfoIT_T1_EESF_NSC_IKS6_SE_EElS8_S8_SE_T6_
		.amdhsa_group_segment_fixed_size 0
		.amdhsa_private_segment_fixed_size 0
		.amdhsa_kernarg_size 1952
		.amdhsa_user_sgpr_count 6
		.amdhsa_user_sgpr_private_segment_buffer 1
		.amdhsa_user_sgpr_dispatch_ptr 0
		.amdhsa_user_sgpr_queue_ptr 0
		.amdhsa_user_sgpr_kernarg_segment_ptr 1
		.amdhsa_user_sgpr_dispatch_id 0
		.amdhsa_user_sgpr_flat_scratch_init 0
		.amdhsa_user_sgpr_kernarg_preload_length 0
		.amdhsa_user_sgpr_kernarg_preload_offset 0
		.amdhsa_user_sgpr_private_segment_size 0
		.amdhsa_uses_dynamic_stack 0
		.amdhsa_system_sgpr_private_segment_wavefront_offset 0
		.amdhsa_system_sgpr_workgroup_id_x 1
		.amdhsa_system_sgpr_workgroup_id_y 0
		.amdhsa_system_sgpr_workgroup_id_z 0
		.amdhsa_system_sgpr_workgroup_info 0
		.amdhsa_system_vgpr_workitem_id 0
		.amdhsa_next_free_vgpr 18
		.amdhsa_next_free_sgpr 46
		.amdhsa_accum_offset 20
		.amdhsa_reserve_vcc 1
		.amdhsa_reserve_flat_scratch 0
		.amdhsa_float_round_mode_32 0
		.amdhsa_float_round_mode_16_64 0
		.amdhsa_float_denorm_mode_32 3
		.amdhsa_float_denorm_mode_16_64 3
		.amdhsa_dx10_clamp 1
		.amdhsa_ieee_mode 1
		.amdhsa_fp16_overflow 0
		.amdhsa_tg_split 0
		.amdhsa_exception_fp_ieee_invalid_op 0
		.amdhsa_exception_fp_denorm_src 0
		.amdhsa_exception_fp_ieee_div_zero 0
		.amdhsa_exception_fp_ieee_overflow 0
		.amdhsa_exception_fp_ieee_underflow 0
		.amdhsa_exception_fp_ieee_inexact 0
		.amdhsa_exception_int_div_zero 0
	.end_amdhsa_kernel
	.section	.text._ZN2at4cuda17kernelHistogram1DIsslLi1ELi2ELin1ELNS0_23CUDAHistogramMemoryTypeE1EZNS0_21CUDA_tensor_histogramIssLb0EEEbNS_6TensorES4_S4_lNS_14AccumulateTypeIT0_Lb1EE4typeES8_NS0_13TensorArgTypeES9_S9_EUllE_EEvNS0_6detail10TensorInfoIT_T1_EESF_NSC_IKS6_SE_EElS8_S8_SE_T6_,"axG",@progbits,_ZN2at4cuda17kernelHistogram1DIsslLi1ELi2ELin1ELNS0_23CUDAHistogramMemoryTypeE1EZNS0_21CUDA_tensor_histogramIssLb0EEEbNS_6TensorES4_S4_lNS_14AccumulateTypeIT0_Lb1EE4typeES8_NS0_13TensorArgTypeES9_S9_EUllE_EEvNS0_6detail10TensorInfoIT_T1_EESF_NSC_IKS6_SE_EElS8_S8_SE_T6_,comdat
.Lfunc_end73:
	.size	_ZN2at4cuda17kernelHistogram1DIsslLi1ELi2ELin1ELNS0_23CUDAHistogramMemoryTypeE1EZNS0_21CUDA_tensor_histogramIssLb0EEEbNS_6TensorES4_S4_lNS_14AccumulateTypeIT0_Lb1EE4typeES8_NS0_13TensorArgTypeES9_S9_EUllE_EEvNS0_6detail10TensorInfoIT_T1_EESF_NSC_IKS6_SE_EElS8_S8_SE_T6_, .Lfunc_end73-_ZN2at4cuda17kernelHistogram1DIsslLi1ELi2ELin1ELNS0_23CUDAHistogramMemoryTypeE1EZNS0_21CUDA_tensor_histogramIssLb0EEEbNS_6TensorES4_S4_lNS_14AccumulateTypeIT0_Lb1EE4typeES8_NS0_13TensorArgTypeES9_S9_EUllE_EEvNS0_6detail10TensorInfoIT_T1_EESF_NSC_IKS6_SE_EElS8_S8_SE_T6_
                                        ; -- End function
	.section	.AMDGPU.csdata,"",@progbits
; Kernel info:
; codeLenInByte = 2432
; NumSgprs: 50
; NumVgprs: 18
; NumAgprs: 0
; TotalNumVgprs: 18
; ScratchSize: 0
; MemoryBound: 0
; FloatMode: 240
; IeeeMode: 1
; LDSByteSize: 0 bytes/workgroup (compile time only)
; SGPRBlocks: 6
; VGPRBlocks: 2
; NumSGPRsForWavesPerEU: 50
; NumVGPRsForWavesPerEU: 18
; AccumOffset: 20
; Occupancy: 8
; WaveLimiterHint : 1
; COMPUTE_PGM_RSRC2:SCRATCH_EN: 0
; COMPUTE_PGM_RSRC2:USER_SGPR: 6
; COMPUTE_PGM_RSRC2:TRAP_HANDLER: 0
; COMPUTE_PGM_RSRC2:TGID_X_EN: 1
; COMPUTE_PGM_RSRC2:TGID_Y_EN: 0
; COMPUTE_PGM_RSRC2:TGID_Z_EN: 0
; COMPUTE_PGM_RSRC2:TIDIG_COMP_CNT: 0
; COMPUTE_PGM_RSRC3_GFX90A:ACCUM_OFFSET: 4
; COMPUTE_PGM_RSRC3_GFX90A:TG_SPLIT: 0
	.section	.text._ZN2at4cuda17kernelHistogram1DIsslLi1ELi2ELin1ELNS0_23CUDAHistogramMemoryTypeE0EZNS0_21CUDA_tensor_histogramIssLb0EEEbNS_6TensorES4_S4_lNS_14AccumulateTypeIT0_Lb1EE4typeES8_NS0_13TensorArgTypeES9_S9_EUllE0_EEvNS0_6detail10TensorInfoIT_T1_EESF_NSC_IKS6_SE_EElS8_S8_SE_T6_,"axG",@progbits,_ZN2at4cuda17kernelHistogram1DIsslLi1ELi2ELin1ELNS0_23CUDAHistogramMemoryTypeE0EZNS0_21CUDA_tensor_histogramIssLb0EEEbNS_6TensorES4_S4_lNS_14AccumulateTypeIT0_Lb1EE4typeES8_NS0_13TensorArgTypeES9_S9_EUllE0_EEvNS0_6detail10TensorInfoIT_T1_EESF_NSC_IKS6_SE_EElS8_S8_SE_T6_,comdat
	.protected	_ZN2at4cuda17kernelHistogram1DIsslLi1ELi2ELin1ELNS0_23CUDAHistogramMemoryTypeE0EZNS0_21CUDA_tensor_histogramIssLb0EEEbNS_6TensorES4_S4_lNS_14AccumulateTypeIT0_Lb1EE4typeES8_NS0_13TensorArgTypeES9_S9_EUllE0_EEvNS0_6detail10TensorInfoIT_T1_EESF_NSC_IKS6_SE_EElS8_S8_SE_T6_ ; -- Begin function _ZN2at4cuda17kernelHistogram1DIsslLi1ELi2ELin1ELNS0_23CUDAHistogramMemoryTypeE0EZNS0_21CUDA_tensor_histogramIssLb0EEEbNS_6TensorES4_S4_lNS_14AccumulateTypeIT0_Lb1EE4typeES8_NS0_13TensorArgTypeES9_S9_EUllE0_EEvNS0_6detail10TensorInfoIT_T1_EESF_NSC_IKS6_SE_EElS8_S8_SE_T6_
	.globl	_ZN2at4cuda17kernelHistogram1DIsslLi1ELi2ELin1ELNS0_23CUDAHistogramMemoryTypeE0EZNS0_21CUDA_tensor_histogramIssLb0EEEbNS_6TensorES4_S4_lNS_14AccumulateTypeIT0_Lb1EE4typeES8_NS0_13TensorArgTypeES9_S9_EUllE0_EEvNS0_6detail10TensorInfoIT_T1_EESF_NSC_IKS6_SE_EElS8_S8_SE_T6_
	.p2align	8
	.type	_ZN2at4cuda17kernelHistogram1DIsslLi1ELi2ELin1ELNS0_23CUDAHistogramMemoryTypeE0EZNS0_21CUDA_tensor_histogramIssLb0EEEbNS_6TensorES4_S4_lNS_14AccumulateTypeIT0_Lb1EE4typeES8_NS0_13TensorArgTypeES9_S9_EUllE0_EEvNS0_6detail10TensorInfoIT_T1_EESF_NSC_IKS6_SE_EElS8_S8_SE_T6_,@function
_ZN2at4cuda17kernelHistogram1DIsslLi1ELi2ELin1ELNS0_23CUDAHistogramMemoryTypeE0EZNS0_21CUDA_tensor_histogramIssLb0EEEbNS_6TensorES4_S4_lNS_14AccumulateTypeIT0_Lb1EE4typeES8_NS0_13TensorArgTypeES9_S9_EUllE0_EEvNS0_6detail10TensorInfoIT_T1_EESF_NSC_IKS6_SE_EElS8_S8_SE_T6_: ; @_ZN2at4cuda17kernelHistogram1DIsslLi1ELi2ELin1ELNS0_23CUDAHistogramMemoryTypeE0EZNS0_21CUDA_tensor_histogramIssLb0EEEbNS_6TensorES4_S4_lNS_14AccumulateTypeIT0_Lb1EE4typeES8_NS0_13TensorArgTypeES9_S9_EUllE0_EEvNS0_6detail10TensorInfoIT_T1_EESF_NSC_IKS6_SE_EElS8_S8_SE_T6_
; %bb.0:
	s_load_dwordx4 s[16:19], s[4:5], 0x0
	v_mov_b32_e32 v1, 0
	s_add_u32 s24, s4, 0x508
	s_addc_u32 s25, s5, 0
                                        ; implicit-def: $sgpr7
	s_waitcnt lgkmcnt(0)
	v_cmp_gt_i64_e64 s[0:1], s[18:19], v[0:1]
	v_cmp_le_i64_e32 vcc, s[18:19], v[0:1]
	s_and_saveexec_b64 s[2:3], vcc
	s_xor_b64 s[2:3], exec, s[2:3]
	s_cbranch_execz .LBB74_2
; %bb.1:
	s_load_dword s7, s[24:25], 0xc
.LBB74_2:
	s_or_saveexec_b64 s[8:9], s[2:3]
	s_load_dwordx2 s[20:21], s[4:5], 0xd0
	s_waitcnt lgkmcnt(0)
	v_mov_b32_e32 v4, s7
	s_xor_b64 exec, exec, s[8:9]
	s_cbranch_execz .LBB74_16
; %bb.3:
	s_load_dword s7, s[24:25], 0xc
	v_mov_b32_e32 v2, s19
	s_mov_b32 s13, 0
	s_waitcnt lgkmcnt(0)
	s_and_b32 s12, s7, 0xffff
	v_add_co_u32_e32 v4, vcc, s12, v0
	v_addc_co_u32_e64 v5, s[2:3], 0, 0, vcc
	v_cmp_gt_i64_e32 vcc, s[18:19], v[4:5]
	v_cndmask_b32_e32 v6, v5, v2, vcc
	v_mov_b32_e32 v2, s18
	v_cndmask_b32_e32 v3, v4, v2, vcc
	v_cndmask_b32_e64 v2, 0, 1, vcc
	v_add_co_u32_e32 v4, vcc, v4, v2
	v_addc_co_u32_e32 v5, vcc, 0, v5, vcc
	v_sub_co_u32_e32 v3, vcc, v3, v4
	v_subb_co_u32_e32 v5, vcc, v6, v5, vcc
	v_mov_b32_e32 v4, 0
	v_cmp_ne_u64_e32 vcc, 0, v[4:5]
                                        ; implicit-def: $vgpr6_vgpr7
	s_and_saveexec_b64 s[2:3], vcc
	s_xor_b64 s[10:11], exec, s[2:3]
	s_cbranch_execz .LBB74_5
; %bb.4:
	v_cvt_f32_u32_e32 v4, s12
	v_mov_b32_e32 v6, 0x4f800000
	s_sub_u32 s2, 0, s12
	s_subb_u32 s3, 0, 0
	v_mac_f32_e32 v4, 0, v6
	v_rcp_f32_e32 v4, v4
	v_mul_f32_e32 v4, 0x5f7ffffc, v4
	v_mul_f32_e32 v6, 0x2f800000, v4
	v_trunc_f32_e32 v6, v6
	v_madmk_f32 v4, v6, 0xcf800000, v4
	v_cvt_u32_f32_e32 v6, v6
	v_cvt_u32_f32_e32 v4, v4
	v_mul_lo_u32 v7, s2, v6
	v_mul_hi_u32 v9, s2, v4
	v_mul_lo_u32 v8, s3, v4
	v_add_u32_e32 v7, v9, v7
	v_mul_lo_u32 v10, s2, v4
	v_add_u32_e32 v7, v7, v8
	v_mul_hi_u32 v9, v4, v10
	v_mul_lo_u32 v11, v4, v7
	v_mul_hi_u32 v8, v4, v7
	v_add_co_u32_e32 v9, vcc, v9, v11
	v_addc_co_u32_e32 v8, vcc, 0, v8, vcc
	v_mul_hi_u32 v12, v6, v10
	v_mul_lo_u32 v10, v6, v10
	v_add_co_u32_e32 v9, vcc, v9, v10
	v_mul_hi_u32 v11, v6, v7
	v_addc_co_u32_e32 v8, vcc, v8, v12, vcc
	v_addc_co_u32_e32 v9, vcc, 0, v11, vcc
	v_mul_lo_u32 v7, v6, v7
	v_add_co_u32_e32 v7, vcc, v8, v7
	v_addc_co_u32_e32 v8, vcc, 0, v9, vcc
	v_add_co_u32_e32 v4, vcc, v4, v7
	v_addc_co_u32_e32 v6, vcc, v6, v8, vcc
	v_mul_lo_u32 v7, s2, v6
	v_mul_hi_u32 v8, s2, v4
	v_add_u32_e32 v7, v8, v7
	v_mul_lo_u32 v8, s3, v4
	v_add_u32_e32 v7, v7, v8
	v_mul_lo_u32 v9, s2, v4
	v_mul_hi_u32 v10, v6, v9
	v_mul_lo_u32 v11, v6, v9
	v_mul_lo_u32 v13, v4, v7
	v_mul_hi_u32 v9, v4, v9
	v_mul_hi_u32 v12, v4, v7
	v_add_co_u32_e32 v9, vcc, v9, v13
	v_addc_co_u32_e32 v12, vcc, 0, v12, vcc
	v_add_co_u32_e32 v9, vcc, v9, v11
	v_mul_hi_u32 v8, v6, v7
	v_addc_co_u32_e32 v9, vcc, v12, v10, vcc
	v_addc_co_u32_e32 v8, vcc, 0, v8, vcc
	v_mul_lo_u32 v7, v6, v7
	v_add_co_u32_e32 v7, vcc, v9, v7
	v_addc_co_u32_e32 v8, vcc, 0, v8, vcc
	v_add_co_u32_e32 v4, vcc, v4, v7
	v_addc_co_u32_e32 v8, vcc, v6, v8, vcc
	v_mad_u64_u32 v[6:7], s[2:3], v3, v8, 0
	v_mul_hi_u32 v9, v3, v4
	v_add_co_u32_e32 v10, vcc, v9, v6
	v_addc_co_u32_e32 v11, vcc, 0, v7, vcc
	v_mad_u64_u32 v[6:7], s[2:3], v5, v8, 0
	v_mad_u64_u32 v[8:9], s[2:3], v5, v4, 0
	v_add_co_u32_e32 v4, vcc, v10, v8
	v_addc_co_u32_e32 v4, vcc, v11, v9, vcc
	v_addc_co_u32_e32 v7, vcc, 0, v7, vcc
	v_add_co_u32_e32 v10, vcc, v4, v6
	v_addc_co_u32_e32 v11, vcc, 0, v7, vcc
	v_mad_u64_u32 v[6:7], s[2:3], s12, v10, 0
	v_mov_b32_e32 v4, v7
	v_mad_u64_u32 v[8:9], s[2:3], s12, v11, v[4:5]
	v_sub_co_u32_e32 v3, vcc, v3, v6
	v_subb_co_u32_e32 v4, vcc, v5, v8, vcc
	v_subrev_co_u32_e32 v5, vcc, s12, v3
	v_subbrev_co_u32_e32 v6, vcc, 0, v4, vcc
	v_cmp_le_u32_e32 vcc, s12, v5
	v_cndmask_b32_e64 v5, 0, -1, vcc
	v_cmp_eq_u32_e32 vcc, 0, v6
	v_cndmask_b32_e32 v5, -1, v5, vcc
	v_add_co_u32_e32 v6, vcc, 2, v10
	v_addc_co_u32_e32 v7, vcc, 0, v11, vcc
	v_add_co_u32_e32 v8, vcc, 1, v10
	v_cmp_le_u32_e64 s[2:3], s12, v3
	v_addc_co_u32_e32 v9, vcc, 0, v11, vcc
	v_cndmask_b32_e64 v3, 0, -1, s[2:3]
	v_cmp_eq_u32_e64 s[2:3], 0, v4
	v_cmp_ne_u32_e32 vcc, 0, v5
	v_cndmask_b32_e64 v3, -1, v3, s[2:3]
	v_cndmask_b32_e32 v5, v9, v7, vcc
	v_cmp_ne_u32_e64 s[2:3], 0, v3
	v_cndmask_b32_e32 v3, v8, v6, vcc
	v_cndmask_b32_e64 v7, v11, v5, s[2:3]
	v_cndmask_b32_e64 v6, v10, v3, s[2:3]
                                        ; implicit-def: $vgpr3
.LBB74_5:
	s_andn2_saveexec_b64 s[2:3], s[10:11]
	s_cbranch_execz .LBB74_7
; %bb.6:
	v_cvt_f32_u32_e32 v4, s12
	s_sub_i32 s10, 0, s12
	v_mov_b32_e32 v7, 0
	v_rcp_iflag_f32_e32 v4, v4
	v_mul_f32_e32 v4, 0x4f7ffffe, v4
	v_cvt_u32_f32_e32 v4, v4
	v_mul_lo_u32 v5, s10, v4
	v_mul_hi_u32 v5, v4, v5
	v_add_u32_e32 v4, v4, v5
	v_mul_hi_u32 v4, v3, v4
	v_mul_lo_u32 v5, v4, s12
	v_sub_u32_e32 v3, v3, v5
	v_add_u32_e32 v6, 1, v4
	v_subrev_u32_e32 v5, s12, v3
	v_cmp_le_u32_e32 vcc, s12, v3
	v_cndmask_b32_e32 v3, v3, v5, vcc
	v_cndmask_b32_e32 v4, v4, v6, vcc
	v_add_u32_e32 v5, 1, v4
	v_cmp_le_u32_e32 vcc, s12, v3
	v_cndmask_b32_e32 v6, v4, v5, vcc
.LBB74_7:
	s_or_b64 exec, exec, s[2:3]
	v_add_co_u32_e32 v2, vcc, v6, v2
	v_addc_co_u32_e32 v3, vcc, 0, v7, vcc
	v_add_co_u32_e32 v4, vcc, 1, v2
	v_addc_co_u32_e32 v5, vcc, 0, v3, vcc
	v_cmp_lt_u64_e32 vcc, 3, v[4:5]
	v_cmp_eq_u16_e64 s[2:3], s7, 1
	s_and_b64 s[22:23], vcc, s[2:3]
	s_mov_b64 s[10:11], -1
	v_pk_mov_b32 v[2:3], v[0:1], v[0:1] op_sel:[0,1]
                                        ; implicit-def: $sgpr14
	s_and_saveexec_b64 s[2:3], s[22:23]
	s_cbranch_execz .LBB74_11
; %bb.8:
	v_and_b32_e32 v6, -4, v4
	v_mov_b32_e32 v7, v5
	v_mov_b32_e32 v2, 0
	v_lshl_add_u32 v10, v0, 1, 0
	s_mov_b64 s[10:11], 0
	v_mov_b32_e32 v3, v2
	v_pk_mov_b32 v[8:9], v[6:7], v[6:7] op_sel:[0,1]
.LBB74_9:                               ; =>This Inner Loop Header: Depth=1
	v_add_co_u32_e32 v8, vcc, -4, v8
	v_addc_co_u32_e32 v9, vcc, -1, v9, vcc
	v_cmp_eq_u64_e32 vcc, 0, v[8:9]
	ds_write_b64 v10, v[2:3]
	s_or_b64 s[10:11], vcc, s[10:11]
	v_add_u32_e32 v10, 8, v10
	s_andn2_b64 exec, exec, s[10:11]
	s_cbranch_execnz .LBB74_9
; %bb.10:
	s_or_b64 exec, exec, s[10:11]
	v_mad_u64_u32 v[2:3], s[10:11], v6, s12, v[0:1]
	v_mov_b32_e32 v8, v3
	v_mad_u64_u32 v[8:9], s[10:11], v7, s12, v[8:9]
	v_cmp_ne_u64_e32 vcc, v[4:5], v[6:7]
	v_mov_b32_e32 v3, v8
	s_mov_b32 s14, 1
	s_orn2_b64 s[10:11], vcc, exec
.LBB74_11:
	s_or_b64 exec, exec, s[2:3]
	v_mov_b32_e32 v4, s14
	s_and_saveexec_b64 s[2:3], s[10:11]
	s_cbranch_execz .LBB74_15
; %bb.12:
	v_mov_b32_e32 v4, 0
	v_lshl_add_u32 v5, v2, 1, 0
	s_lshl_b32 s14, s12, 1
	s_mov_b64 s[10:11], 0
	v_mov_b32_e32 v6, s13
.LBB74_13:                              ; =>This Inner Loop Header: Depth=1
	v_add_co_u32_e32 v2, vcc, s12, v2
	v_addc_co_u32_e32 v3, vcc, v3, v6, vcc
	v_cmp_le_i64_e32 vcc, s[18:19], v[2:3]
	ds_write_b16 v5, v4
	s_or_b64 s[10:11], vcc, s[10:11]
	v_add_u32_e32 v5, s14, v5
	s_andn2_b64 exec, exec, s[10:11]
	s_cbranch_execnz .LBB74_13
; %bb.14:
	s_or_b64 exec, exec, s[10:11]
	v_mov_b32_e32 v4, s7
.LBB74_15:
	s_or_b64 exec, exec, s[2:3]
.LBB74_16:
	s_or_b64 exec, exec, s[8:9]
	s_load_dwordx8 s[8:15], s[4:5], 0x4e0
	v_and_b32_e32 v2, 0xffff, v4
	v_mad_u64_u32 v[4:5], s[2:3], s6, v2, v[0:1]
	v_mov_b32_e32 v6, 0
	v_mov_b32_e32 v5, v6
	s_waitcnt lgkmcnt(0)
	v_cmp_gt_i64_e32 vcc, s[14:15], v[4:5]
	s_barrier
	s_waitcnt lgkmcnt(0)
                                        ; kill: def $vgpr3 killed $sgpr0 killed $exec
	s_and_saveexec_b64 s[22:23], vcc
	s_cbranch_execz .LBB74_37
; %bb.17:
	s_load_dword s6, s[4:5], 0x4d8
	s_add_u32 s7, s4, 0x340
	s_addc_u32 s29, s5, 0
	s_load_dword s28, s[24:25], 0x0
	s_load_dwordx2 s[26:27], s[4:5], 0x340
	s_mov_b64 s[30:31], 0
	s_load_dwordx2 s[24:25], s[4:5], 0x410
	s_waitcnt lgkmcnt(0)
	s_cmp_gt_i32 s6, 1
	s_cselect_b64 s[2:3], -1, 0
	s_sub_u32 s33, s12, s10
	s_subb_u32 s42, s13, s11
	s_mov_b32 s5, 0
	s_add_i32 s4, s6, -1
	s_add_i32 s43, s6, 1
	s_lshl_b64 s[4:5], s[4:5], 3
	s_add_u32 s4, s4, s7
	s_addc_u32 s5, s5, s29
	v_mul_lo_u32 v8, s28, v2
	s_add_u32 s28, s4, 8
	v_cndmask_b32_e64 v3, 0, 1, s[2:3]
	s_addc_u32 s29, s5, 0
	v_cmp_ne_u32_e64 s[2:3], 1, v3
	s_mov_b32 s44, 0xffff0000
	s_branch .LBB74_19
.LBB74_18:                              ;   in Loop: Header=BB74_19 Depth=1
	s_or_b64 exec, exec, s[34:35]
	v_add_co_u32_e32 v4, vcc, v4, v8
	v_addc_co_u32_e32 v5, vcc, 0, v5, vcc
	v_cmp_le_i64_e32 vcc, s[14:15], v[4:5]
	s_or_b64 s[30:31], vcc, s[30:31]
	s_andn2_b64 exec, exec, s[30:31]
	s_cbranch_execz .LBB74_37
.LBB74_19:                              ; =>This Loop Header: Depth=1
                                        ;     Child Loop BB74_20 Depth 2
                                        ;     Child Loop BB74_33 Depth 2
	s_and_b64 vcc, exec, s[2:3]
	v_pk_mov_b32 v[10:11], 0, 0
	s_mov_b64 s[6:7], s[28:29]
	s_mov_b32 s45, s43
	v_pk_mov_b32 v[12:13], v[4:5], v[4:5] op_sel:[0,1]
	v_pk_mov_b32 v[14:15], v[4:5], v[4:5] op_sel:[0,1]
	s_cbranch_vccnz .LBB74_26
.LBB74_20:                              ;   Parent Loop BB74_19 Depth=1
                                        ; =>  This Inner Loop Header: Depth=2
	s_load_dwordx2 s[34:35], s[6:7], 0x0
                                        ; implicit-def: $vgpr14_vgpr15
	s_waitcnt lgkmcnt(0)
	v_or_b32_e32 v7, s35, v13
	v_cmp_ne_u64_e32 vcc, 0, v[6:7]
	s_and_saveexec_b64 s[4:5], vcc
	s_xor_b64 s[36:37], exec, s[4:5]
	s_cbranch_execz .LBB74_22
; %bb.21:                               ;   in Loop: Header=BB74_20 Depth=2
	s_ashr_i32 s38, s35, 31
	s_add_u32 s4, s34, s38
	s_mov_b32 s39, s38
	s_addc_u32 s5, s35, s38
	s_xor_b64 s[40:41], s[4:5], s[38:39]
	v_cvt_f32_u32_e32 v3, s40
	v_cvt_f32_u32_e32 v7, s41
	s_sub_u32 s4, 0, s40
	s_subb_u32 s5, 0, s41
	v_mac_f32_e32 v3, 0x4f800000, v7
	v_rcp_f32_e32 v3, v3
	v_mul_f32_e32 v3, 0x5f7ffffc, v3
	v_mul_f32_e32 v7, 0x2f800000, v3
	v_trunc_f32_e32 v7, v7
	v_mac_f32_e32 v3, 0xcf800000, v7
	v_cvt_u32_f32_e32 v7, v7
	v_cvt_u32_f32_e32 v3, v3
	v_mul_lo_u32 v9, s4, v7
	v_mul_hi_u32 v15, s4, v3
	v_mul_lo_u32 v14, s5, v3
	v_add_u32_e32 v9, v15, v9
	v_mul_lo_u32 v16, s4, v3
	v_add_u32_e32 v9, v9, v14
	v_mul_lo_u32 v15, v3, v9
	v_mul_hi_u32 v17, v3, v16
	v_mul_hi_u32 v14, v3, v9
	v_add_co_u32_e32 v15, vcc, v17, v15
	v_addc_co_u32_e32 v14, vcc, 0, v14, vcc
	v_mul_hi_u32 v18, v7, v16
	v_mul_lo_u32 v16, v7, v16
	v_add_co_u32_e32 v15, vcc, v15, v16
	v_mul_hi_u32 v17, v7, v9
	v_addc_co_u32_e32 v14, vcc, v14, v18, vcc
	v_addc_co_u32_e32 v15, vcc, 0, v17, vcc
	v_mul_lo_u32 v9, v7, v9
	v_add_co_u32_e32 v9, vcc, v14, v9
	v_addc_co_u32_e32 v14, vcc, 0, v15, vcc
	v_add_co_u32_e32 v3, vcc, v3, v9
	v_addc_co_u32_e32 v7, vcc, v7, v14, vcc
	v_mul_lo_u32 v9, s4, v7
	v_mul_hi_u32 v14, s4, v3
	v_add_u32_e32 v9, v14, v9
	v_mul_lo_u32 v14, s5, v3
	v_add_u32_e32 v9, v9, v14
	v_mul_lo_u32 v15, s4, v3
	v_mul_hi_u32 v16, v7, v15
	v_mul_lo_u32 v17, v7, v15
	v_mul_lo_u32 v19, v3, v9
	v_mul_hi_u32 v15, v3, v15
	v_mul_hi_u32 v18, v3, v9
	v_add_co_u32_e32 v15, vcc, v15, v19
	v_addc_co_u32_e32 v18, vcc, 0, v18, vcc
	v_add_co_u32_e32 v15, vcc, v15, v17
	v_mul_hi_u32 v14, v7, v9
	v_addc_co_u32_e32 v15, vcc, v18, v16, vcc
	v_addc_co_u32_e32 v14, vcc, 0, v14, vcc
	v_mul_lo_u32 v9, v7, v9
	v_add_co_u32_e32 v9, vcc, v15, v9
	v_addc_co_u32_e32 v14, vcc, 0, v14, vcc
	v_add_co_u32_e32 v3, vcc, v3, v9
	v_addc_co_u32_e32 v7, vcc, v7, v14, vcc
	v_ashrrev_i32_e32 v9, 31, v13
	v_add_co_u32_e32 v14, vcc, v12, v9
	v_addc_co_u32_e32 v15, vcc, v13, v9, vcc
	v_xor_b32_e32 v19, v14, v9
	v_xor_b32_e32 v18, v15, v9
	v_mad_u64_u32 v[14:15], s[4:5], v19, v7, 0
	v_mul_hi_u32 v16, v19, v3
	v_add_co_u32_e32 v20, vcc, v16, v14
	v_addc_co_u32_e32 v21, vcc, 0, v15, vcc
	v_mad_u64_u32 v[16:17], s[4:5], v18, v3, 0
	v_add_co_u32_e32 v3, vcc, v20, v16
	v_mad_u64_u32 v[14:15], s[4:5], v18, v7, 0
	v_addc_co_u32_e32 v3, vcc, v21, v17, vcc
	v_addc_co_u32_e32 v7, vcc, 0, v15, vcc
	v_add_co_u32_e32 v3, vcc, v3, v14
	v_addc_co_u32_e32 v7, vcc, 0, v7, vcc
	v_mul_lo_u32 v16, s41, v3
	v_mul_lo_u32 v17, s40, v7
	v_mad_u64_u32 v[14:15], s[4:5], s40, v3, 0
	v_add3_u32 v15, v15, v17, v16
	v_sub_u32_e32 v16, v18, v15
	v_mov_b32_e32 v17, s41
	v_sub_co_u32_e32 v14, vcc, v19, v14
	v_subb_co_u32_e64 v16, s[4:5], v16, v17, vcc
	v_subrev_co_u32_e64 v17, s[4:5], s40, v14
	v_subbrev_co_u32_e64 v16, s[4:5], 0, v16, s[4:5]
	v_cmp_le_u32_e64 s[4:5], s41, v16
	v_cndmask_b32_e64 v19, 0, -1, s[4:5]
	v_cmp_le_u32_e64 s[4:5], s40, v17
	v_cndmask_b32_e64 v17, 0, -1, s[4:5]
	v_cmp_eq_u32_e64 s[4:5], s41, v16
	v_cndmask_b32_e64 v16, v19, v17, s[4:5]
	v_add_co_u32_e64 v17, s[4:5], 2, v3
	v_subb_co_u32_e32 v15, vcc, v18, v15, vcc
	v_addc_co_u32_e64 v19, s[4:5], 0, v7, s[4:5]
	v_cmp_le_u32_e32 vcc, s41, v15
	v_add_co_u32_e64 v20, s[4:5], 1, v3
	v_cndmask_b32_e64 v18, 0, -1, vcc
	v_cmp_le_u32_e32 vcc, s40, v14
	v_addc_co_u32_e64 v21, s[4:5], 0, v7, s[4:5]
	v_cndmask_b32_e64 v14, 0, -1, vcc
	v_cmp_eq_u32_e32 vcc, s41, v15
	v_cmp_ne_u32_e64 s[4:5], 0, v16
	v_cndmask_b32_e32 v14, v18, v14, vcc
	v_cmp_ne_u32_e32 vcc, 0, v14
	v_cndmask_b32_e64 v14, v20, v17, s[4:5]
	v_cndmask_b32_e64 v16, v21, v19, s[4:5]
	v_cndmask_b32_e32 v3, v3, v14, vcc
	v_xor_b32_e32 v9, s38, v9
	v_cndmask_b32_e32 v7, v7, v16, vcc
	v_xor_b32_e32 v3, v3, v9
	v_xor_b32_e32 v7, v7, v9
	v_sub_co_u32_e32 v14, vcc, v3, v9
	v_subb_co_u32_e32 v15, vcc, v7, v9, vcc
.LBB74_22:                              ;   in Loop: Header=BB74_20 Depth=2
	s_andn2_saveexec_b64 s[4:5], s[36:37]
	s_cbranch_execz .LBB74_24
; %bb.23:                               ;   in Loop: Header=BB74_20 Depth=2
	v_cvt_f32_u32_e32 v3, s34
	s_sub_i32 s36, 0, s34
	v_mov_b32_e32 v15, v6
	v_rcp_iflag_f32_e32 v3, v3
	v_mul_f32_e32 v3, 0x4f7ffffe, v3
	v_cvt_u32_f32_e32 v3, v3
	v_mul_lo_u32 v7, s36, v3
	v_mul_hi_u32 v7, v3, v7
	v_add_u32_e32 v3, v3, v7
	v_mul_hi_u32 v3, v12, v3
	v_mul_lo_u32 v7, v3, s34
	v_sub_u32_e32 v7, v12, v7
	v_add_u32_e32 v9, 1, v3
	v_subrev_u32_e32 v14, s34, v7
	v_cmp_le_u32_e32 vcc, s34, v7
	v_cndmask_b32_e32 v7, v7, v14, vcc
	v_cndmask_b32_e32 v3, v3, v9, vcc
	v_add_u32_e32 v9, 1, v3
	v_cmp_le_u32_e32 vcc, s34, v7
	v_cndmask_b32_e32 v14, v3, v9, vcc
.LBB74_24:                              ;   in Loop: Header=BB74_20 Depth=2
	s_or_b64 exec, exec, s[4:5]
	v_mad_u64_u32 v[16:17], s[4:5], v14, s34, 0
	s_load_dwordx2 s[4:5], s[6:7], 0xc8
	v_mul_lo_u32 v3, v15, s34
	v_mul_lo_u32 v7, v14, s35
	v_add3_u32 v3, v17, v7, v3
	v_sub_co_u32_e32 v7, vcc, v12, v16
	s_add_i32 s45, s45, -1
	v_subb_co_u32_e32 v3, vcc, v13, v3, vcc
	s_add_u32 s6, s6, -8
	s_waitcnt lgkmcnt(0)
	v_mul_lo_u32 v3, s4, v3
	v_mul_lo_u32 v9, s5, v7
	v_mad_u64_u32 v[10:11], s[4:5], s4, v7, v[10:11]
	s_addc_u32 s7, s7, -1
	s_cmp_gt_u32 s45, 2
	v_add3_u32 v11, v9, v11, v3
	s_cbranch_scc0 .LBB74_26
; %bb.25:                               ;   in Loop: Header=BB74_20 Depth=2
	v_pk_mov_b32 v[12:13], v[14:15], v[14:15] op_sel:[0,1]
	s_branch .LBB74_20
.LBB74_26:                              ;   in Loop: Header=BB74_19 Depth=1
	v_mul_lo_u32 v3, s25, v14
	v_mul_lo_u32 v7, s24, v15
	v_mad_u64_u32 v[12:13], s[4:5], s24, v14, 0
	v_add3_u32 v13, v13, v7, v3
	v_lshlrev_b64 v[12:13], 1, v[12:13]
	v_mov_b32_e32 v3, s27
	v_add_co_u32_e32 v7, vcc, s26, v12
	v_addc_co_u32_e32 v3, vcc, v3, v13, vcc
	v_lshlrev_b64 v[10:11], 1, v[10:11]
	v_add_co_u32_e32 v10, vcc, v7, v10
	v_addc_co_u32_e32 v11, vcc, v3, v11, vcc
	global_load_ushort v3, v[10:11], off
	s_waitcnt vmcnt(0)
	v_bfe_i32 v10, v3, 0, 16
	v_ashrrev_i32_e32 v11, 31, v10
	v_cmp_le_i64_e32 vcc, s[10:11], v[10:11]
	v_cmp_ge_i64_e64 s[4:5], s[12:13], v[10:11]
	s_and_b64 s[4:5], vcc, s[4:5]
	s_and_saveexec_b64 s[34:35], s[4:5]
	s_cbranch_execz .LBB74_18
; %bb.27:                               ;   in Loop: Header=BB74_19 Depth=1
	v_mov_b32_e32 v3, s11
	v_subrev_co_u32_e32 v7, vcc, s10, v10
	v_subb_co_u32_e32 v3, vcc, v11, v3, vcc
	v_mul_lo_u32 v3, v3, s8
	v_mul_lo_u32 v9, v7, s9
	v_mad_u64_u32 v[10:11], s[4:5], v7, s8, 0
	v_add3_u32 v11, v11, v9, v3
	v_or_b32_e32 v7, s42, v11
	v_cmp_ne_u64_e32 vcc, 0, v[6:7]
                                        ; implicit-def: $vgpr12_vgpr13
	s_and_saveexec_b64 s[4:5], vcc
	s_xor_b64 s[6:7], exec, s[4:5]
	s_cbranch_execz .LBB74_29
; %bb.28:                               ;   in Loop: Header=BB74_19 Depth=1
	s_ashr_i32 s36, s42, 31
	s_add_u32 s4, s33, s36
	s_mov_b32 s37, s36
	s_addc_u32 s5, s42, s36
	s_xor_b64 s[38:39], s[4:5], s[36:37]
	v_cvt_f32_u32_e32 v3, s38
	v_cvt_f32_u32_e32 v7, s39
	s_sub_u32 s4, 0, s38
	s_subb_u32 s5, 0, s39
	v_mac_f32_e32 v3, 0x4f800000, v7
	v_rcp_f32_e32 v3, v3
	v_mul_f32_e32 v3, 0x5f7ffffc, v3
	v_mul_f32_e32 v7, 0x2f800000, v3
	v_trunc_f32_e32 v7, v7
	v_mac_f32_e32 v3, 0xcf800000, v7
	v_cvt_u32_f32_e32 v7, v7
	v_cvt_u32_f32_e32 v3, v3
	v_mul_lo_u32 v9, s4, v7
	v_mul_hi_u32 v13, s4, v3
	v_mul_lo_u32 v12, s5, v3
	v_add_u32_e32 v9, v13, v9
	v_mul_lo_u32 v14, s4, v3
	v_add_u32_e32 v9, v9, v12
	v_mul_lo_u32 v13, v3, v9
	v_mul_hi_u32 v15, v3, v14
	v_mul_hi_u32 v12, v3, v9
	v_add_co_u32_e32 v13, vcc, v15, v13
	v_addc_co_u32_e32 v12, vcc, 0, v12, vcc
	v_mul_hi_u32 v16, v7, v14
	v_mul_lo_u32 v14, v7, v14
	v_add_co_u32_e32 v13, vcc, v13, v14
	v_mul_hi_u32 v15, v7, v9
	v_addc_co_u32_e32 v12, vcc, v12, v16, vcc
	v_addc_co_u32_e32 v13, vcc, 0, v15, vcc
	v_mul_lo_u32 v9, v7, v9
	v_add_co_u32_e32 v9, vcc, v12, v9
	v_addc_co_u32_e32 v12, vcc, 0, v13, vcc
	v_add_co_u32_e32 v3, vcc, v3, v9
	v_addc_co_u32_e32 v7, vcc, v7, v12, vcc
	v_mul_lo_u32 v9, s4, v7
	v_mul_hi_u32 v12, s4, v3
	v_add_u32_e32 v9, v12, v9
	v_mul_lo_u32 v12, s5, v3
	v_add_u32_e32 v9, v9, v12
	v_mul_lo_u32 v13, s4, v3
	v_mul_hi_u32 v14, v7, v13
	v_mul_lo_u32 v15, v7, v13
	v_mul_lo_u32 v17, v3, v9
	v_mul_hi_u32 v13, v3, v13
	v_mul_hi_u32 v16, v3, v9
	v_add_co_u32_e32 v13, vcc, v13, v17
	v_addc_co_u32_e32 v16, vcc, 0, v16, vcc
	v_add_co_u32_e32 v13, vcc, v13, v15
	v_mul_hi_u32 v12, v7, v9
	v_addc_co_u32_e32 v13, vcc, v16, v14, vcc
	v_addc_co_u32_e32 v12, vcc, 0, v12, vcc
	v_mul_lo_u32 v9, v7, v9
	v_add_co_u32_e32 v9, vcc, v13, v9
	v_addc_co_u32_e32 v12, vcc, 0, v12, vcc
	v_add_co_u32_e32 v3, vcc, v3, v9
	v_addc_co_u32_e32 v7, vcc, v7, v12, vcc
	v_ashrrev_i32_e32 v9, 31, v11
	v_add_co_u32_e32 v10, vcc, v10, v9
	v_addc_co_u32_e32 v11, vcc, v11, v9, vcc
	v_xor_b32_e32 v15, v10, v9
	v_xor_b32_e32 v14, v11, v9
	v_mad_u64_u32 v[10:11], s[4:5], v15, v7, 0
	v_mul_hi_u32 v12, v15, v3
	v_add_co_u32_e32 v16, vcc, v12, v10
	v_addc_co_u32_e32 v17, vcc, 0, v11, vcc
	v_mad_u64_u32 v[12:13], s[4:5], v14, v3, 0
	v_add_co_u32_e32 v3, vcc, v16, v12
	v_mad_u64_u32 v[10:11], s[4:5], v14, v7, 0
	v_addc_co_u32_e32 v3, vcc, v17, v13, vcc
	v_addc_co_u32_e32 v7, vcc, 0, v11, vcc
	v_add_co_u32_e32 v3, vcc, v3, v10
	v_addc_co_u32_e32 v7, vcc, 0, v7, vcc
	v_mul_lo_u32 v12, s39, v3
	v_mul_lo_u32 v7, s38, v7
	v_mad_u64_u32 v[10:11], s[4:5], s38, v3, 0
	v_add3_u32 v7, v11, v7, v12
	v_sub_u32_e32 v11, v14, v7
	v_mov_b32_e32 v12, s39
	v_sub_co_u32_e32 v10, vcc, v15, v10
	v_subb_co_u32_e64 v11, s[4:5], v11, v12, vcc
	v_subrev_co_u32_e64 v12, s[4:5], s38, v10
	v_subbrev_co_u32_e64 v11, s[4:5], 0, v11, s[4:5]
	v_cmp_le_u32_e64 s[4:5], s39, v11
	v_subb_co_u32_e32 v7, vcc, v14, v7, vcc
	v_cndmask_b32_e64 v13, 0, -1, s[4:5]
	v_cmp_le_u32_e64 s[4:5], s38, v12
	v_cmp_le_u32_e32 vcc, s39, v7
	v_cndmask_b32_e64 v12, 0, -1, s[4:5]
	v_cmp_eq_u32_e64 s[4:5], s39, v11
	v_cndmask_b32_e64 v14, 0, -1, vcc
	v_cmp_le_u32_e32 vcc, s38, v10
	v_cndmask_b32_e64 v11, v13, v12, s[4:5]
	v_cndmask_b32_e64 v10, 0, -1, vcc
	v_cmp_eq_u32_e32 vcc, s39, v7
	v_add_co_u32_e64 v12, s[4:5], 2, v3
	v_add_co_u32_e64 v13, s[4:5], 1, v3
	v_cndmask_b32_e32 v7, v14, v10, vcc
	v_cmp_ne_u32_e32 vcc, 0, v11
	v_cndmask_b32_e32 v10, v13, v12, vcc
	v_cmp_ne_u32_e32 vcc, 0, v7
	v_cndmask_b32_e32 v3, v3, v10, vcc
	v_xor_b32_e32 v7, s36, v9
	v_xor_b32_e32 v3, v3, v7
	v_sub_co_u32_e32 v12, vcc, v3, v7
                                        ; implicit-def: $vgpr10_vgpr11
.LBB74_29:                              ;   in Loop: Header=BB74_19 Depth=1
	s_andn2_saveexec_b64 s[4:5], s[6:7]
	s_cbranch_execz .LBB74_31
; %bb.30:                               ;   in Loop: Header=BB74_19 Depth=1
	v_cvt_f32_u32_e32 v3, s33
	s_sub_i32 s6, 0, s33
	v_rcp_iflag_f32_e32 v3, v3
	v_mul_f32_e32 v3, 0x4f7ffffe, v3
	v_cvt_u32_f32_e32 v3, v3
	v_mul_lo_u32 v7, s6, v3
	v_mul_hi_u32 v7, v3, v7
	v_add_u32_e32 v3, v3, v7
	v_mul_hi_u32 v3, v10, v3
	v_mul_lo_u32 v7, v3, s33
	v_sub_u32_e32 v7, v10, v7
	v_add_u32_e32 v9, 1, v3
	v_subrev_u32_e32 v10, s33, v7
	v_cmp_le_u32_e32 vcc, s33, v7
	v_cndmask_b32_e32 v7, v7, v10, vcc
	v_cndmask_b32_e32 v3, v3, v9, vcc
	v_add_u32_e32 v9, 1, v3
	v_cmp_le_u32_e32 vcc, s33, v7
	v_cndmask_b32_e32 v12, v3, v9, vcc
.LBB74_31:                              ;   in Loop: Header=BB74_19 Depth=1
	s_or_b64 exec, exec, s[4:5]
	v_ashrrev_i32_e32 v13, 31, v12
	v_cmp_eq_u64_e32 vcc, s[8:9], v[12:13]
	v_subbrev_co_u32_e32 v3, vcc, 0, v12, vcc
	v_lshl_add_u32 v7, v3, 1, 0
	v_and_b32_e32 v3, -3, v7
	ds_read_b32 v3, v3
	v_and_b32_e32 v10, 2, v7
	v_mov_b32_e32 v11, v6
	v_sub_u32_e32 v9, 0, v10
	s_mov_b64 s[36:37], 0
	v_cmp_eq_u64_e32 vcc, 0, v[10:11]
	v_cmp_ne_u32_e64 s[4:5], 0, v10
	v_add_u32_e32 v7, v7, v9
	s_branch .LBB74_33
.LBB74_32:                              ;   in Loop: Header=BB74_33 Depth=2
	s_or_b64 exec, exec, s[6:7]
	ds_cmpst_rtn_b32 v9, v7, v3, v9
	s_waitcnt lgkmcnt(0)
	v_cmp_eq_u32_e64 s[6:7], v3, v9
	s_or_b64 s[36:37], s[6:7], s[36:37]
	v_mov_b32_e32 v3, v9
	s_andn2_b64 exec, exec, s[36:37]
	s_cbranch_execz .LBB74_18
.LBB74_33:                              ;   Parent Loop BB74_19 Depth=1
                                        ; =>  This Inner Loop Header: Depth=2
	s_waitcnt lgkmcnt(0)
	v_lshrrev_b32_e32 v9, 16, v3
	v_cndmask_b32_e32 v9, v9, v3, vcc
	v_add_u32_e32 v9, 1, v9
	v_and_b32_e32 v10, 0xffff, v9
                                        ; implicit-def: $vgpr9
	s_and_saveexec_b64 s[6:7], s[4:5]
	s_xor_b64 s[6:7], exec, s[6:7]
; %bb.34:                               ;   in Loop: Header=BB74_33 Depth=2
	v_and_b32_e32 v9, 0xffff, v3
	v_lshl_or_b32 v9, v10, 16, v9
                                        ; implicit-def: $vgpr10
; %bb.35:                               ;   in Loop: Header=BB74_33 Depth=2
	s_andn2_saveexec_b64 s[6:7], s[6:7]
	s_cbranch_execz .LBB74_32
; %bb.36:                               ;   in Loop: Header=BB74_33 Depth=2
	v_and_or_b32 v9, v3, s44, v10
	s_branch .LBB74_32
.LBB74_37:
	s_or_b64 exec, exec, s[22:23]
; %bb.38:
	s_barrier
	s_and_saveexec_b64 s[2:3], s[0:1]
	s_cbranch_execz .LBB74_47
; %bb.39:
	v_mov_b32_e32 v5, 0
	s_mov_b64 s[4:5], 0
	v_mov_b32_e32 v3, s17
	s_mov_b32 s8, 0xffff0000
	s_branch .LBB74_41
.LBB74_40:                              ;   in Loop: Header=BB74_41 Depth=1
	s_or_b64 exec, exec, s[6:7]
	v_add_co_u32_e32 v0, vcc, v0, v2
	v_addc_co_u32_e32 v1, vcc, 0, v1, vcc
	v_cmp_le_i64_e32 vcc, s[18:19], v[0:1]
	s_or_b64 s[4:5], vcc, s[4:5]
	s_andn2_b64 exec, exec, s[4:5]
	s_cbranch_execz .LBB74_47
.LBB74_41:                              ; =>This Loop Header: Depth=1
                                        ;     Child Loop BB74_43 Depth 2
	v_mul_lo_u32 v4, v1, s20
	v_mul_lo_u32 v8, v0, s21
	v_mad_u64_u32 v[6:7], s[0:1], v0, s20, 0
	v_add3_u32 v7, v7, v8, v4
	v_lshlrev_b64 v[6:7], 1, v[6:7]
	v_add_co_u32_e32 v4, vcc, s16, v6
	v_addc_co_u32_e32 v7, vcc, v3, v7, vcc
	v_and_b32_e32 v6, -3, v4
	global_load_dword v9, v[6:7], off
	v_lshl_add_u32 v8, v0, 1, 0
	ds_read_u16 v10, v8
	v_and_b32_e32 v4, 2, v4
	v_cmp_eq_u64_e32 vcc, 0, v[4:5]
	v_cmp_ne_u32_e64 s[0:1], 0, v4
	s_mov_b64 s[6:7], 0
	s_branch .LBB74_43
.LBB74_42:                              ;   in Loop: Header=BB74_43 Depth=2
	s_or_b64 exec, exec, s[2:3]
	global_atomic_cmpswap v4, v[6:7], v[8:9], off glc
	s_waitcnt vmcnt(0)
	v_cmp_eq_u32_e64 s[2:3], v9, v4
	s_or_b64 s[6:7], s[2:3], s[6:7]
	v_mov_b32_e32 v9, v4
	s_andn2_b64 exec, exec, s[6:7]
	s_cbranch_execz .LBB74_40
.LBB74_43:                              ;   Parent Loop BB74_41 Depth=1
                                        ; =>  This Inner Loop Header: Depth=2
	s_waitcnt vmcnt(0)
	v_lshrrev_b32_e32 v4, 16, v9
	v_cndmask_b32_e32 v4, v4, v9, vcc
	s_waitcnt lgkmcnt(0)
	v_add_u16_e32 v4, v10, v4
                                        ; kill: def $vgpr8 killed $sgpr0 killed $exec
	s_and_saveexec_b64 s[2:3], s[0:1]
	s_xor_b64 s[2:3], exec, s[2:3]
; %bb.44:                               ;   in Loop: Header=BB74_43 Depth=2
	v_and_b32_e32 v8, 0xffff, v9
	v_lshl_or_b32 v8, v4, 16, v8
                                        ; implicit-def: $vgpr4
; %bb.45:                               ;   in Loop: Header=BB74_43 Depth=2
	s_andn2_saveexec_b64 s[2:3], s[2:3]
	s_cbranch_execz .LBB74_42
; %bb.46:                               ;   in Loop: Header=BB74_43 Depth=2
	v_and_or_b32 v8, v9, s8, v4
	s_branch .LBB74_42
.LBB74_47:
	s_endpgm
	.section	.rodata,"a",@progbits
	.p2align	6, 0x0
	.amdhsa_kernel _ZN2at4cuda17kernelHistogram1DIsslLi1ELi2ELin1ELNS0_23CUDAHistogramMemoryTypeE0EZNS0_21CUDA_tensor_histogramIssLb0EEEbNS_6TensorES4_S4_lNS_14AccumulateTypeIT0_Lb1EE4typeES8_NS0_13TensorArgTypeES9_S9_EUllE0_EEvNS0_6detail10TensorInfoIT_T1_EESF_NSC_IKS6_SE_EElS8_S8_SE_T6_
		.amdhsa_group_segment_fixed_size 0
		.amdhsa_private_segment_fixed_size 0
		.amdhsa_kernarg_size 1544
		.amdhsa_user_sgpr_count 6
		.amdhsa_user_sgpr_private_segment_buffer 1
		.amdhsa_user_sgpr_dispatch_ptr 0
		.amdhsa_user_sgpr_queue_ptr 0
		.amdhsa_user_sgpr_kernarg_segment_ptr 1
		.amdhsa_user_sgpr_dispatch_id 0
		.amdhsa_user_sgpr_flat_scratch_init 0
		.amdhsa_user_sgpr_kernarg_preload_length 0
		.amdhsa_user_sgpr_kernarg_preload_offset 0
		.amdhsa_user_sgpr_private_segment_size 0
		.amdhsa_uses_dynamic_stack 0
		.amdhsa_system_sgpr_private_segment_wavefront_offset 0
		.amdhsa_system_sgpr_workgroup_id_x 1
		.amdhsa_system_sgpr_workgroup_id_y 0
		.amdhsa_system_sgpr_workgroup_id_z 0
		.amdhsa_system_sgpr_workgroup_info 0
		.amdhsa_system_vgpr_workitem_id 0
		.amdhsa_next_free_vgpr 22
		.amdhsa_next_free_sgpr 46
		.amdhsa_accum_offset 24
		.amdhsa_reserve_vcc 1
		.amdhsa_reserve_flat_scratch 0
		.amdhsa_float_round_mode_32 0
		.amdhsa_float_round_mode_16_64 0
		.amdhsa_float_denorm_mode_32 3
		.amdhsa_float_denorm_mode_16_64 3
		.amdhsa_dx10_clamp 1
		.amdhsa_ieee_mode 1
		.amdhsa_fp16_overflow 0
		.amdhsa_tg_split 0
		.amdhsa_exception_fp_ieee_invalid_op 0
		.amdhsa_exception_fp_denorm_src 0
		.amdhsa_exception_fp_ieee_div_zero 0
		.amdhsa_exception_fp_ieee_overflow 0
		.amdhsa_exception_fp_ieee_underflow 0
		.amdhsa_exception_fp_ieee_inexact 0
		.amdhsa_exception_int_div_zero 0
	.end_amdhsa_kernel
	.section	.text._ZN2at4cuda17kernelHistogram1DIsslLi1ELi2ELin1ELNS0_23CUDAHistogramMemoryTypeE0EZNS0_21CUDA_tensor_histogramIssLb0EEEbNS_6TensorES4_S4_lNS_14AccumulateTypeIT0_Lb1EE4typeES8_NS0_13TensorArgTypeES9_S9_EUllE0_EEvNS0_6detail10TensorInfoIT_T1_EESF_NSC_IKS6_SE_EElS8_S8_SE_T6_,"axG",@progbits,_ZN2at4cuda17kernelHistogram1DIsslLi1ELi2ELin1ELNS0_23CUDAHistogramMemoryTypeE0EZNS0_21CUDA_tensor_histogramIssLb0EEEbNS_6TensorES4_S4_lNS_14AccumulateTypeIT0_Lb1EE4typeES8_NS0_13TensorArgTypeES9_S9_EUllE0_EEvNS0_6detail10TensorInfoIT_T1_EESF_NSC_IKS6_SE_EElS8_S8_SE_T6_,comdat
.Lfunc_end74:
	.size	_ZN2at4cuda17kernelHistogram1DIsslLi1ELi2ELin1ELNS0_23CUDAHistogramMemoryTypeE0EZNS0_21CUDA_tensor_histogramIssLb0EEEbNS_6TensorES4_S4_lNS_14AccumulateTypeIT0_Lb1EE4typeES8_NS0_13TensorArgTypeES9_S9_EUllE0_EEvNS0_6detail10TensorInfoIT_T1_EESF_NSC_IKS6_SE_EElS8_S8_SE_T6_, .Lfunc_end74-_ZN2at4cuda17kernelHistogram1DIsslLi1ELi2ELin1ELNS0_23CUDAHistogramMemoryTypeE0EZNS0_21CUDA_tensor_histogramIssLb0EEEbNS_6TensorES4_S4_lNS_14AccumulateTypeIT0_Lb1EE4typeES8_NS0_13TensorArgTypeES9_S9_EUllE0_EEvNS0_6detail10TensorInfoIT_T1_EESF_NSC_IKS6_SE_EElS8_S8_SE_T6_
                                        ; -- End function
	.section	.AMDGPU.csdata,"",@progbits
; Kernel info:
; codeLenInByte = 3640
; NumSgprs: 50
; NumVgprs: 22
; NumAgprs: 0
; TotalNumVgprs: 22
; ScratchSize: 0
; MemoryBound: 0
; FloatMode: 240
; IeeeMode: 1
; LDSByteSize: 0 bytes/workgroup (compile time only)
; SGPRBlocks: 6
; VGPRBlocks: 2
; NumSGPRsForWavesPerEU: 50
; NumVGPRsForWavesPerEU: 22
; AccumOffset: 24
; Occupancy: 8
; WaveLimiterHint : 1
; COMPUTE_PGM_RSRC2:SCRATCH_EN: 0
; COMPUTE_PGM_RSRC2:USER_SGPR: 6
; COMPUTE_PGM_RSRC2:TRAP_HANDLER: 0
; COMPUTE_PGM_RSRC2:TGID_X_EN: 1
; COMPUTE_PGM_RSRC2:TGID_Y_EN: 0
; COMPUTE_PGM_RSRC2:TGID_Z_EN: 0
; COMPUTE_PGM_RSRC2:TIDIG_COMP_CNT: 0
; COMPUTE_PGM_RSRC3_GFX90A:ACCUM_OFFSET: 5
; COMPUTE_PGM_RSRC3_GFX90A:TG_SPLIT: 0
	.section	.text._ZN2at4cuda17kernelHistogram1DIsslLi1ELi2ELin1ELNS0_23CUDAHistogramMemoryTypeE1EZNS0_21CUDA_tensor_histogramIssLb0EEEbNS_6TensorES4_S4_lNS_14AccumulateTypeIT0_Lb1EE4typeES8_NS0_13TensorArgTypeES9_S9_EUllE0_EEvNS0_6detail10TensorInfoIT_T1_EESF_NSC_IKS6_SE_EElS8_S8_SE_T6_,"axG",@progbits,_ZN2at4cuda17kernelHistogram1DIsslLi1ELi2ELin1ELNS0_23CUDAHistogramMemoryTypeE1EZNS0_21CUDA_tensor_histogramIssLb0EEEbNS_6TensorES4_S4_lNS_14AccumulateTypeIT0_Lb1EE4typeES8_NS0_13TensorArgTypeES9_S9_EUllE0_EEvNS0_6detail10TensorInfoIT_T1_EESF_NSC_IKS6_SE_EElS8_S8_SE_T6_,comdat
	.protected	_ZN2at4cuda17kernelHistogram1DIsslLi1ELi2ELin1ELNS0_23CUDAHistogramMemoryTypeE1EZNS0_21CUDA_tensor_histogramIssLb0EEEbNS_6TensorES4_S4_lNS_14AccumulateTypeIT0_Lb1EE4typeES8_NS0_13TensorArgTypeES9_S9_EUllE0_EEvNS0_6detail10TensorInfoIT_T1_EESF_NSC_IKS6_SE_EElS8_S8_SE_T6_ ; -- Begin function _ZN2at4cuda17kernelHistogram1DIsslLi1ELi2ELin1ELNS0_23CUDAHistogramMemoryTypeE1EZNS0_21CUDA_tensor_histogramIssLb0EEEbNS_6TensorES4_S4_lNS_14AccumulateTypeIT0_Lb1EE4typeES8_NS0_13TensorArgTypeES9_S9_EUllE0_EEvNS0_6detail10TensorInfoIT_T1_EESF_NSC_IKS6_SE_EElS8_S8_SE_T6_
	.globl	_ZN2at4cuda17kernelHistogram1DIsslLi1ELi2ELin1ELNS0_23CUDAHistogramMemoryTypeE1EZNS0_21CUDA_tensor_histogramIssLb0EEEbNS_6TensorES4_S4_lNS_14AccumulateTypeIT0_Lb1EE4typeES8_NS0_13TensorArgTypeES9_S9_EUllE0_EEvNS0_6detail10TensorInfoIT_T1_EESF_NSC_IKS6_SE_EElS8_S8_SE_T6_
	.p2align	8
	.type	_ZN2at4cuda17kernelHistogram1DIsslLi1ELi2ELin1ELNS0_23CUDAHistogramMemoryTypeE1EZNS0_21CUDA_tensor_histogramIssLb0EEEbNS_6TensorES4_S4_lNS_14AccumulateTypeIT0_Lb1EE4typeES8_NS0_13TensorArgTypeES9_S9_EUllE0_EEvNS0_6detail10TensorInfoIT_T1_EESF_NSC_IKS6_SE_EElS8_S8_SE_T6_,@function
_ZN2at4cuda17kernelHistogram1DIsslLi1ELi2ELin1ELNS0_23CUDAHistogramMemoryTypeE1EZNS0_21CUDA_tensor_histogramIssLb0EEEbNS_6TensorES4_S4_lNS_14AccumulateTypeIT0_Lb1EE4typeES8_NS0_13TensorArgTypeES9_S9_EUllE0_EEvNS0_6detail10TensorInfoIT_T1_EESF_NSC_IKS6_SE_EElS8_S8_SE_T6_: ; @_ZN2at4cuda17kernelHistogram1DIsslLi1ELi2ELin1ELNS0_23CUDAHistogramMemoryTypeE1EZNS0_21CUDA_tensor_histogramIssLb0EEEbNS_6TensorES4_S4_lNS_14AccumulateTypeIT0_Lb1EE4typeES8_NS0_13TensorArgTypeES9_S9_EUllE0_EEvNS0_6detail10TensorInfoIT_T1_EESF_NSC_IKS6_SE_EElS8_S8_SE_T6_
; %bb.0:
	s_load_dword s2, s[4:5], 0x514
	s_load_dwordx8 s[8:15], s[4:5], 0x4e0
	s_add_u32 s0, s4, 0x508
	s_addc_u32 s1, s5, 0
	v_mov_b32_e32 v2, 0
	s_waitcnt lgkmcnt(0)
	s_and_b32 s2, s2, 0xffff
	s_mul_i32 s6, s6, s2
	v_add_u32_e32 v0, s6, v0
	v_mov_b32_e32 v1, v2
	v_cmp_gt_i64_e32 vcc, s[14:15], v[0:1]
	s_and_saveexec_b64 s[6:7], vcc
	s_cbranch_execz .LBB75_21
; %bb.1:
	s_load_dword s3, s[4:5], 0x4d8
	s_load_dwordx2 s[6:7], s[4:5], 0x0
	s_load_dwordx2 s[16:17], s[4:5], 0xd0
	s_load_dword s24, s[0:1], 0x0
	s_add_u32 s22, s4, 0x340
	s_addc_u32 s23, s5, 0
	s_mov_b32 s38, 0
	s_waitcnt lgkmcnt(0)
	s_cmp_gt_i32 s3, 1
	s_cselect_b64 s[0:1], -1, 0
	s_sub_u32 s33, s12, s10
	s_subb_u32 s36, s13, s11
	s_mul_i32 s37, s24, s2
	s_add_i32 s39, s3, 1
	s_add_i32 s2, s3, -1
	s_mov_b32 s3, s38
	s_load_dwordx2 s[18:19], s[4:5], 0x410
	s_load_dwordx2 s[20:21], s[4:5], 0x340
	s_lshl_b64 s[2:3], s[2:3], 3
	s_add_u32 s2, s2, s22
	s_addc_u32 s3, s3, s23
	s_add_u32 s22, s2, 8
	v_cndmask_b32_e64 v3, 0, 1, s[0:1]
	s_addc_u32 s23, s3, 0
	s_mov_b64 s[24:25], 0
	v_cmp_ne_u32_e64 s[0:1], 1, v3
	s_mov_b32 s40, 0xffff0000
	s_branch .LBB75_3
.LBB75_2:                               ;   in Loop: Header=BB75_3 Depth=1
	s_or_b64 exec, exec, s[26:27]
	v_mov_b32_e32 v3, s38
	v_add_co_u32_e32 v0, vcc, s37, v0
	v_addc_co_u32_e32 v1, vcc, v1, v3, vcc
	v_cmp_le_i64_e32 vcc, s[14:15], v[0:1]
	s_or_b64 s[24:25], vcc, s[24:25]
	s_andn2_b64 exec, exec, s[24:25]
	s_cbranch_execz .LBB75_21
.LBB75_3:                               ; =>This Loop Header: Depth=1
                                        ;     Child Loop BB75_4 Depth 2
                                        ;     Child Loop BB75_17 Depth 2
	s_and_b64 vcc, exec, s[0:1]
	v_pk_mov_b32 v[4:5], 0, 0
	s_mov_b64 s[4:5], s[22:23]
	s_mov_b32 s41, s39
	v_pk_mov_b32 v[6:7], v[0:1], v[0:1] op_sel:[0,1]
	v_pk_mov_b32 v[8:9], v[0:1], v[0:1] op_sel:[0,1]
	s_cbranch_vccnz .LBB75_10
.LBB75_4:                               ;   Parent Loop BB75_3 Depth=1
                                        ; =>  This Inner Loop Header: Depth=2
	s_load_dwordx2 s[26:27], s[4:5], 0x0
                                        ; implicit-def: $vgpr8_vgpr9
	s_waitcnt lgkmcnt(0)
	v_or_b32_e32 v3, s27, v7
	v_cmp_ne_u64_e32 vcc, 0, v[2:3]
	s_and_saveexec_b64 s[2:3], vcc
	s_xor_b64 s[28:29], exec, s[2:3]
	s_cbranch_execz .LBB75_6
; %bb.5:                                ;   in Loop: Header=BB75_4 Depth=2
	s_ashr_i32 s30, s27, 31
	s_add_u32 s2, s26, s30
	s_mov_b32 s31, s30
	s_addc_u32 s3, s27, s30
	s_xor_b64 s[34:35], s[2:3], s[30:31]
	v_cvt_f32_u32_e32 v3, s34
	v_cvt_f32_u32_e32 v8, s35
	s_sub_u32 s2, 0, s34
	s_subb_u32 s3, 0, s35
	v_mac_f32_e32 v3, 0x4f800000, v8
	v_rcp_f32_e32 v3, v3
	v_mul_f32_e32 v3, 0x5f7ffffc, v3
	v_mul_f32_e32 v8, 0x2f800000, v3
	v_trunc_f32_e32 v8, v8
	v_mac_f32_e32 v3, 0xcf800000, v8
	v_cvt_u32_f32_e32 v8, v8
	v_cvt_u32_f32_e32 v3, v3
	v_mul_lo_u32 v9, s2, v8
	v_mul_hi_u32 v11, s2, v3
	v_mul_lo_u32 v10, s3, v3
	v_add_u32_e32 v9, v11, v9
	v_mul_lo_u32 v12, s2, v3
	v_add_u32_e32 v9, v9, v10
	v_mul_lo_u32 v11, v3, v9
	v_mul_hi_u32 v13, v3, v12
	v_mul_hi_u32 v10, v3, v9
	v_add_co_u32_e32 v11, vcc, v13, v11
	v_addc_co_u32_e32 v10, vcc, 0, v10, vcc
	v_mul_hi_u32 v14, v8, v12
	v_mul_lo_u32 v12, v8, v12
	v_add_co_u32_e32 v11, vcc, v11, v12
	v_mul_hi_u32 v13, v8, v9
	v_addc_co_u32_e32 v10, vcc, v10, v14, vcc
	v_addc_co_u32_e32 v11, vcc, 0, v13, vcc
	v_mul_lo_u32 v9, v8, v9
	v_add_co_u32_e32 v9, vcc, v10, v9
	v_addc_co_u32_e32 v10, vcc, 0, v11, vcc
	v_add_co_u32_e32 v3, vcc, v3, v9
	v_addc_co_u32_e32 v8, vcc, v8, v10, vcc
	v_mul_lo_u32 v9, s2, v8
	v_mul_hi_u32 v10, s2, v3
	v_add_u32_e32 v9, v10, v9
	v_mul_lo_u32 v10, s3, v3
	v_add_u32_e32 v9, v9, v10
	v_mul_lo_u32 v11, s2, v3
	v_mul_hi_u32 v12, v8, v11
	v_mul_lo_u32 v13, v8, v11
	v_mul_lo_u32 v15, v3, v9
	v_mul_hi_u32 v11, v3, v11
	v_mul_hi_u32 v14, v3, v9
	v_add_co_u32_e32 v11, vcc, v11, v15
	v_addc_co_u32_e32 v14, vcc, 0, v14, vcc
	v_add_co_u32_e32 v11, vcc, v11, v13
	v_mul_hi_u32 v10, v8, v9
	v_addc_co_u32_e32 v11, vcc, v14, v12, vcc
	v_addc_co_u32_e32 v10, vcc, 0, v10, vcc
	v_mul_lo_u32 v9, v8, v9
	v_add_co_u32_e32 v9, vcc, v11, v9
	v_addc_co_u32_e32 v10, vcc, 0, v10, vcc
	v_add_co_u32_e32 v3, vcc, v3, v9
	v_addc_co_u32_e32 v10, vcc, v8, v10, vcc
	v_ashrrev_i32_e32 v12, 31, v7
	v_add_co_u32_e32 v8, vcc, v6, v12
	v_addc_co_u32_e32 v9, vcc, v7, v12, vcc
	v_xor_b32_e32 v14, v8, v12
	v_xor_b32_e32 v13, v9, v12
	v_mad_u64_u32 v[8:9], s[2:3], v14, v10, 0
	v_mul_hi_u32 v11, v14, v3
	v_add_co_u32_e32 v15, vcc, v11, v8
	v_addc_co_u32_e32 v16, vcc, 0, v9, vcc
	v_mad_u64_u32 v[8:9], s[2:3], v13, v10, 0
	v_mad_u64_u32 v[10:11], s[2:3], v13, v3, 0
	v_add_co_u32_e32 v3, vcc, v15, v10
	v_addc_co_u32_e32 v3, vcc, v16, v11, vcc
	v_addc_co_u32_e32 v9, vcc, 0, v9, vcc
	v_add_co_u32_e32 v3, vcc, v3, v8
	v_addc_co_u32_e32 v10, vcc, 0, v9, vcc
	v_mul_lo_u32 v11, s35, v3
	v_mul_lo_u32 v15, s34, v10
	v_mad_u64_u32 v[8:9], s[2:3], s34, v3, 0
	v_add3_u32 v9, v9, v15, v11
	v_sub_u32_e32 v11, v13, v9
	v_mov_b32_e32 v15, s35
	v_sub_co_u32_e32 v8, vcc, v14, v8
	v_subb_co_u32_e64 v11, s[2:3], v11, v15, vcc
	v_subrev_co_u32_e64 v14, s[2:3], s34, v8
	v_subbrev_co_u32_e64 v11, s[2:3], 0, v11, s[2:3]
	v_cmp_le_u32_e64 s[2:3], s35, v11
	v_cndmask_b32_e64 v15, 0, -1, s[2:3]
	v_cmp_le_u32_e64 s[2:3], s34, v14
	v_cndmask_b32_e64 v14, 0, -1, s[2:3]
	v_cmp_eq_u32_e64 s[2:3], s35, v11
	v_cndmask_b32_e64 v11, v15, v14, s[2:3]
	v_add_co_u32_e64 v14, s[2:3], 2, v3
	v_subb_co_u32_e32 v9, vcc, v13, v9, vcc
	v_addc_co_u32_e64 v15, s[2:3], 0, v10, s[2:3]
	v_cmp_le_u32_e32 vcc, s35, v9
	v_add_co_u32_e64 v16, s[2:3], 1, v3
	v_cndmask_b32_e64 v13, 0, -1, vcc
	v_cmp_le_u32_e32 vcc, s34, v8
	v_addc_co_u32_e64 v17, s[2:3], 0, v10, s[2:3]
	v_cndmask_b32_e64 v8, 0, -1, vcc
	v_cmp_eq_u32_e32 vcc, s35, v9
	v_cmp_ne_u32_e64 s[2:3], 0, v11
	v_cndmask_b32_e32 v8, v13, v8, vcc
	v_cmp_ne_u32_e32 vcc, 0, v8
	v_cndmask_b32_e64 v9, v16, v14, s[2:3]
	v_cndmask_b32_e64 v11, v17, v15, s[2:3]
	v_cndmask_b32_e32 v3, v3, v9, vcc
	v_xor_b32_e32 v9, s30, v12
	v_cndmask_b32_e32 v8, v10, v11, vcc
	v_xor_b32_e32 v3, v3, v9
	v_xor_b32_e32 v10, v8, v9
	v_sub_co_u32_e32 v8, vcc, v3, v9
	v_subb_co_u32_e32 v9, vcc, v10, v9, vcc
.LBB75_6:                               ;   in Loop: Header=BB75_4 Depth=2
	s_andn2_saveexec_b64 s[2:3], s[28:29]
	s_cbranch_execz .LBB75_8
; %bb.7:                                ;   in Loop: Header=BB75_4 Depth=2
	v_cvt_f32_u32_e32 v3, s26
	s_sub_i32 s28, 0, s26
	v_rcp_iflag_f32_e32 v3, v3
	v_mul_f32_e32 v3, 0x4f7ffffe, v3
	v_cvt_u32_f32_e32 v3, v3
	v_mul_lo_u32 v8, s28, v3
	v_mul_hi_u32 v8, v3, v8
	v_add_u32_e32 v3, v3, v8
	v_mul_hi_u32 v3, v6, v3
	v_mul_lo_u32 v8, v3, s26
	v_sub_u32_e32 v8, v6, v8
	v_add_u32_e32 v9, 1, v3
	v_subrev_u32_e32 v10, s26, v8
	v_cmp_le_u32_e32 vcc, s26, v8
	v_cndmask_b32_e32 v8, v8, v10, vcc
	v_cndmask_b32_e32 v3, v3, v9, vcc
	v_add_u32_e32 v9, 1, v3
	v_cmp_le_u32_e32 vcc, s26, v8
	v_cndmask_b32_e32 v8, v3, v9, vcc
	v_mov_b32_e32 v9, v2
.LBB75_8:                               ;   in Loop: Header=BB75_4 Depth=2
	s_or_b64 exec, exec, s[2:3]
	v_mad_u64_u32 v[10:11], s[2:3], v8, s26, 0
	s_load_dwordx2 s[2:3], s[4:5], 0xc8
	v_mul_lo_u32 v3, v9, s26
	v_mul_lo_u32 v12, v8, s27
	v_add3_u32 v3, v11, v12, v3
	v_sub_co_u32_e32 v6, vcc, v6, v10
	s_add_i32 s41, s41, -1
	v_subb_co_u32_e32 v3, vcc, v7, v3, vcc
	s_add_u32 s4, s4, -8
	s_waitcnt lgkmcnt(0)
	v_mul_lo_u32 v3, s2, v3
	v_mul_lo_u32 v7, s3, v6
	v_mad_u64_u32 v[4:5], s[2:3], s2, v6, v[4:5]
	s_addc_u32 s5, s5, -1
	s_cmp_gt_u32 s41, 2
	v_add3_u32 v5, v7, v5, v3
	s_cbranch_scc0 .LBB75_10
; %bb.9:                                ;   in Loop: Header=BB75_4 Depth=2
	v_pk_mov_b32 v[6:7], v[8:9], v[8:9] op_sel:[0,1]
	s_branch .LBB75_4
.LBB75_10:                              ;   in Loop: Header=BB75_3 Depth=1
	s_waitcnt lgkmcnt(0)
	v_mul_lo_u32 v3, s19, v8
	v_mul_lo_u32 v9, s18, v9
	v_mad_u64_u32 v[6:7], s[2:3], s18, v8, 0
	v_add3_u32 v7, v7, v9, v3
	v_lshlrev_b64 v[6:7], 1, v[6:7]
	v_mov_b32_e32 v3, s21
	v_add_co_u32_e32 v6, vcc, s20, v6
	v_addc_co_u32_e32 v3, vcc, v3, v7, vcc
	v_lshlrev_b64 v[4:5], 1, v[4:5]
	v_add_co_u32_e32 v4, vcc, v6, v4
	v_addc_co_u32_e32 v5, vcc, v3, v5, vcc
	global_load_ushort v3, v[4:5], off
	s_waitcnt vmcnt(0)
	v_bfe_i32 v4, v3, 0, 16
	v_ashrrev_i32_e32 v5, 31, v4
	v_cmp_le_i64_e32 vcc, s[10:11], v[4:5]
	v_cmp_ge_i64_e64 s[2:3], s[12:13], v[4:5]
	s_and_b64 s[2:3], vcc, s[2:3]
	s_and_saveexec_b64 s[26:27], s[2:3]
	s_cbranch_execz .LBB75_2
; %bb.11:                               ;   in Loop: Header=BB75_3 Depth=1
	v_mov_b32_e32 v3, s11
	v_subrev_co_u32_e32 v4, vcc, s10, v4
	v_subb_co_u32_e32 v3, vcc, v5, v3, vcc
	v_mul_lo_u32 v3, v3, s8
	v_mul_lo_u32 v6, v4, s9
	v_mad_u64_u32 v[4:5], s[2:3], v4, s8, 0
	v_add3_u32 v5, v5, v6, v3
	v_or_b32_e32 v3, s36, v5
	v_cmp_ne_u64_e32 vcc, 0, v[2:3]
                                        ; implicit-def: $vgpr6_vgpr7
	s_and_saveexec_b64 s[2:3], vcc
	s_xor_b64 s[4:5], exec, s[2:3]
	s_cbranch_execz .LBB75_13
; %bb.12:                               ;   in Loop: Header=BB75_3 Depth=1
	s_ashr_i32 s28, s36, 31
	s_add_u32 s2, s33, s28
	s_mov_b32 s29, s28
	s_addc_u32 s3, s36, s28
	s_xor_b64 s[30:31], s[2:3], s[28:29]
	v_cvt_f32_u32_e32 v3, s30
	v_cvt_f32_u32_e32 v6, s31
	s_sub_u32 s2, 0, s30
	s_subb_u32 s3, 0, s31
	v_mac_f32_e32 v3, 0x4f800000, v6
	v_rcp_f32_e32 v3, v3
	v_mul_f32_e32 v3, 0x5f7ffffc, v3
	v_mul_f32_e32 v6, 0x2f800000, v3
	v_trunc_f32_e32 v6, v6
	v_mac_f32_e32 v3, 0xcf800000, v6
	v_cvt_u32_f32_e32 v6, v6
	v_cvt_u32_f32_e32 v3, v3
	v_mul_lo_u32 v7, s2, v6
	v_mul_hi_u32 v9, s2, v3
	v_mul_lo_u32 v8, s3, v3
	v_add_u32_e32 v7, v9, v7
	v_mul_lo_u32 v10, s2, v3
	v_add_u32_e32 v7, v7, v8
	v_mul_lo_u32 v9, v3, v7
	v_mul_hi_u32 v11, v3, v10
	v_mul_hi_u32 v8, v3, v7
	v_add_co_u32_e32 v9, vcc, v11, v9
	v_addc_co_u32_e32 v8, vcc, 0, v8, vcc
	v_mul_hi_u32 v12, v6, v10
	v_mul_lo_u32 v10, v6, v10
	v_add_co_u32_e32 v9, vcc, v9, v10
	v_mul_hi_u32 v11, v6, v7
	v_addc_co_u32_e32 v8, vcc, v8, v12, vcc
	v_addc_co_u32_e32 v9, vcc, 0, v11, vcc
	v_mul_lo_u32 v7, v6, v7
	v_add_co_u32_e32 v7, vcc, v8, v7
	v_addc_co_u32_e32 v8, vcc, 0, v9, vcc
	v_add_co_u32_e32 v3, vcc, v3, v7
	v_addc_co_u32_e32 v6, vcc, v6, v8, vcc
	v_mul_lo_u32 v7, s2, v6
	v_mul_hi_u32 v8, s2, v3
	v_add_u32_e32 v7, v8, v7
	v_mul_lo_u32 v8, s3, v3
	v_add_u32_e32 v7, v7, v8
	v_mul_lo_u32 v9, s2, v3
	v_mul_hi_u32 v10, v6, v9
	v_mul_lo_u32 v11, v6, v9
	v_mul_lo_u32 v13, v3, v7
	v_mul_hi_u32 v9, v3, v9
	v_mul_hi_u32 v12, v3, v7
	v_add_co_u32_e32 v9, vcc, v9, v13
	v_addc_co_u32_e32 v12, vcc, 0, v12, vcc
	v_add_co_u32_e32 v9, vcc, v9, v11
	v_mul_hi_u32 v8, v6, v7
	v_addc_co_u32_e32 v9, vcc, v12, v10, vcc
	v_addc_co_u32_e32 v8, vcc, 0, v8, vcc
	v_mul_lo_u32 v7, v6, v7
	v_add_co_u32_e32 v7, vcc, v9, v7
	v_addc_co_u32_e32 v8, vcc, 0, v8, vcc
	v_add_co_u32_e32 v3, vcc, v3, v7
	v_addc_co_u32_e32 v6, vcc, v6, v8, vcc
	v_ashrrev_i32_e32 v8, 31, v5
	v_add_co_u32_e32 v4, vcc, v4, v8
	v_addc_co_u32_e32 v5, vcc, v5, v8, vcc
	v_xor_b32_e32 v10, v4, v8
	v_xor_b32_e32 v9, v5, v8
	v_mad_u64_u32 v[4:5], s[2:3], v10, v6, 0
	v_mul_hi_u32 v7, v10, v3
	v_add_co_u32_e32 v11, vcc, v7, v4
	v_addc_co_u32_e32 v12, vcc, 0, v5, vcc
	v_mad_u64_u32 v[4:5], s[2:3], v9, v6, 0
	v_mad_u64_u32 v[6:7], s[2:3], v9, v3, 0
	v_add_co_u32_e32 v3, vcc, v11, v6
	v_addc_co_u32_e32 v3, vcc, v12, v7, vcc
	v_addc_co_u32_e32 v5, vcc, 0, v5, vcc
	v_add_co_u32_e32 v3, vcc, v3, v4
	v_addc_co_u32_e32 v4, vcc, 0, v5, vcc
	v_mul_lo_u32 v6, s31, v3
	v_mul_lo_u32 v7, s30, v4
	v_mad_u64_u32 v[4:5], s[2:3], s30, v3, 0
	v_add3_u32 v5, v5, v7, v6
	v_sub_u32_e32 v6, v9, v5
	v_mov_b32_e32 v7, s31
	v_sub_co_u32_e32 v4, vcc, v10, v4
	v_subb_co_u32_e64 v6, s[2:3], v6, v7, vcc
	v_subrev_co_u32_e64 v7, s[2:3], s30, v4
	v_subbrev_co_u32_e64 v6, s[2:3], 0, v6, s[2:3]
	v_cmp_le_u32_e64 s[2:3], s31, v6
	v_subb_co_u32_e32 v5, vcc, v9, v5, vcc
	v_cndmask_b32_e64 v10, 0, -1, s[2:3]
	v_cmp_le_u32_e64 s[2:3], s30, v7
	v_cmp_le_u32_e32 vcc, s31, v5
	v_cndmask_b32_e64 v7, 0, -1, s[2:3]
	v_cmp_eq_u32_e64 s[2:3], s31, v6
	v_cndmask_b32_e64 v9, 0, -1, vcc
	v_cmp_le_u32_e32 vcc, s30, v4
	v_cndmask_b32_e64 v6, v10, v7, s[2:3]
	v_cndmask_b32_e64 v4, 0, -1, vcc
	v_cmp_eq_u32_e32 vcc, s31, v5
	v_add_co_u32_e64 v7, s[2:3], 2, v3
	v_add_co_u32_e64 v10, s[2:3], 1, v3
	v_cndmask_b32_e32 v4, v9, v4, vcc
	v_cmp_ne_u32_e32 vcc, 0, v6
	v_cndmask_b32_e32 v5, v10, v7, vcc
	v_cmp_ne_u32_e32 vcc, 0, v4
	v_cndmask_b32_e32 v3, v3, v5, vcc
	v_xor_b32_e32 v4, s28, v8
	v_xor_b32_e32 v3, v3, v4
	v_sub_co_u32_e32 v6, vcc, v3, v4
                                        ; implicit-def: $vgpr4_vgpr5
.LBB75_13:                              ;   in Loop: Header=BB75_3 Depth=1
	s_andn2_saveexec_b64 s[2:3], s[4:5]
	s_cbranch_execz .LBB75_15
; %bb.14:                               ;   in Loop: Header=BB75_3 Depth=1
	v_cvt_f32_u32_e32 v3, s33
	s_sub_i32 s4, 0, s33
	v_rcp_iflag_f32_e32 v3, v3
	v_mul_f32_e32 v3, 0x4f7ffffe, v3
	v_cvt_u32_f32_e32 v3, v3
	v_mul_lo_u32 v5, s4, v3
	v_mul_hi_u32 v5, v3, v5
	v_add_u32_e32 v3, v3, v5
	v_mul_hi_u32 v3, v4, v3
	v_mul_lo_u32 v5, v3, s33
	v_sub_u32_e32 v4, v4, v5
	v_add_u32_e32 v6, 1, v3
	v_subrev_u32_e32 v5, s33, v4
	v_cmp_le_u32_e32 vcc, s33, v4
	v_cndmask_b32_e32 v4, v4, v5, vcc
	v_cndmask_b32_e32 v3, v3, v6, vcc
	v_add_u32_e32 v5, 1, v3
	v_cmp_le_u32_e32 vcc, s33, v4
	v_cndmask_b32_e32 v6, v3, v5, vcc
.LBB75_15:                              ;   in Loop: Header=BB75_3 Depth=1
	s_or_b64 exec, exec, s[2:3]
	v_ashrrev_i32_e32 v7, 31, v6
	v_cmp_eq_u64_e32 vcc, s[8:9], v[6:7]
	v_cndmask_b32_e64 v3, 0, 1, vcc
	v_sub_co_u32_e32 v3, vcc, v6, v3
	v_subbrev_co_u32_e32 v4, vcc, 0, v7, vcc
	v_mul_lo_u32 v6, v4, s16
	v_mul_lo_u32 v7, v3, s17
	v_mad_u64_u32 v[4:5], s[2:3], v3, s16, 0
	v_add3_u32 v5, v5, v7, v6
	v_lshlrev_b64 v[4:5], 1, v[4:5]
	v_mov_b32_e32 v3, s7
	v_add_co_u32_e32 v6, vcc, s6, v4
	v_addc_co_u32_e32 v5, vcc, v3, v5, vcc
	v_and_b32_e32 v4, -3, v6
	global_load_dword v7, v[4:5], off
	v_and_b32_e32 v8, 2, v6
	v_mov_b32_e32 v9, v2
	s_mov_b64 s[28:29], 0
	v_cmp_eq_u64_e32 vcc, 0, v[8:9]
	v_cmp_ne_u32_e64 s[2:3], 0, v8
	s_branch .LBB75_17
.LBB75_16:                              ;   in Loop: Header=BB75_17 Depth=2
	s_or_b64 exec, exec, s[4:5]
	global_atomic_cmpswap v3, v[4:5], v[6:7], off glc
	s_waitcnt vmcnt(0)
	v_cmp_eq_u32_e64 s[4:5], v7, v3
	s_or_b64 s[28:29], s[4:5], s[28:29]
	v_mov_b32_e32 v7, v3
	s_andn2_b64 exec, exec, s[28:29]
	s_cbranch_execz .LBB75_2
.LBB75_17:                              ;   Parent Loop BB75_3 Depth=1
                                        ; =>  This Inner Loop Header: Depth=2
	s_waitcnt vmcnt(0)
	v_lshrrev_b32_e32 v3, 16, v7
	v_cndmask_b32_e32 v3, v3, v7, vcc
	v_add_u32_e32 v3, 1, v3
	v_and_b32_e32 v3, 0xffff, v3
	s_and_saveexec_b64 s[4:5], s[2:3]
	s_xor_b64 s[4:5], exec, s[4:5]
; %bb.18:                               ;   in Loop: Header=BB75_17 Depth=2
	v_and_b32_e32 v6, 0xffff, v7
	v_lshl_or_b32 v6, v3, 16, v6
                                        ; implicit-def: $vgpr3
; %bb.19:                               ;   in Loop: Header=BB75_17 Depth=2
	s_andn2_saveexec_b64 s[4:5], s[4:5]
	s_cbranch_execz .LBB75_16
; %bb.20:                               ;   in Loop: Header=BB75_17 Depth=2
	v_and_or_b32 v6, v7, s40, v3
	s_branch .LBB75_16
.LBB75_21:
	s_endpgm
	.section	.rodata,"a",@progbits
	.p2align	6, 0x0
	.amdhsa_kernel _ZN2at4cuda17kernelHistogram1DIsslLi1ELi2ELin1ELNS0_23CUDAHistogramMemoryTypeE1EZNS0_21CUDA_tensor_histogramIssLb0EEEbNS_6TensorES4_S4_lNS_14AccumulateTypeIT0_Lb1EE4typeES8_NS0_13TensorArgTypeES9_S9_EUllE0_EEvNS0_6detail10TensorInfoIT_T1_EESF_NSC_IKS6_SE_EElS8_S8_SE_T6_
		.amdhsa_group_segment_fixed_size 0
		.amdhsa_private_segment_fixed_size 0
		.amdhsa_kernarg_size 1544
		.amdhsa_user_sgpr_count 6
		.amdhsa_user_sgpr_private_segment_buffer 1
		.amdhsa_user_sgpr_dispatch_ptr 0
		.amdhsa_user_sgpr_queue_ptr 0
		.amdhsa_user_sgpr_kernarg_segment_ptr 1
		.amdhsa_user_sgpr_dispatch_id 0
		.amdhsa_user_sgpr_flat_scratch_init 0
		.amdhsa_user_sgpr_kernarg_preload_length 0
		.amdhsa_user_sgpr_kernarg_preload_offset 0
		.amdhsa_user_sgpr_private_segment_size 0
		.amdhsa_uses_dynamic_stack 0
		.amdhsa_system_sgpr_private_segment_wavefront_offset 0
		.amdhsa_system_sgpr_workgroup_id_x 1
		.amdhsa_system_sgpr_workgroup_id_y 0
		.amdhsa_system_sgpr_workgroup_id_z 0
		.amdhsa_system_sgpr_workgroup_info 0
		.amdhsa_system_vgpr_workitem_id 0
		.amdhsa_next_free_vgpr 18
		.amdhsa_next_free_sgpr 42
		.amdhsa_accum_offset 20
		.amdhsa_reserve_vcc 1
		.amdhsa_reserve_flat_scratch 0
		.amdhsa_float_round_mode_32 0
		.amdhsa_float_round_mode_16_64 0
		.amdhsa_float_denorm_mode_32 3
		.amdhsa_float_denorm_mode_16_64 3
		.amdhsa_dx10_clamp 1
		.amdhsa_ieee_mode 1
		.amdhsa_fp16_overflow 0
		.amdhsa_tg_split 0
		.amdhsa_exception_fp_ieee_invalid_op 0
		.amdhsa_exception_fp_denorm_src 0
		.amdhsa_exception_fp_ieee_div_zero 0
		.amdhsa_exception_fp_ieee_overflow 0
		.amdhsa_exception_fp_ieee_underflow 0
		.amdhsa_exception_fp_ieee_inexact 0
		.amdhsa_exception_int_div_zero 0
	.end_amdhsa_kernel
	.section	.text._ZN2at4cuda17kernelHistogram1DIsslLi1ELi2ELin1ELNS0_23CUDAHistogramMemoryTypeE1EZNS0_21CUDA_tensor_histogramIssLb0EEEbNS_6TensorES4_S4_lNS_14AccumulateTypeIT0_Lb1EE4typeES8_NS0_13TensorArgTypeES9_S9_EUllE0_EEvNS0_6detail10TensorInfoIT_T1_EESF_NSC_IKS6_SE_EElS8_S8_SE_T6_,"axG",@progbits,_ZN2at4cuda17kernelHistogram1DIsslLi1ELi2ELin1ELNS0_23CUDAHistogramMemoryTypeE1EZNS0_21CUDA_tensor_histogramIssLb0EEEbNS_6TensorES4_S4_lNS_14AccumulateTypeIT0_Lb1EE4typeES8_NS0_13TensorArgTypeES9_S9_EUllE0_EEvNS0_6detail10TensorInfoIT_T1_EESF_NSC_IKS6_SE_EElS8_S8_SE_T6_,comdat
.Lfunc_end75:
	.size	_ZN2at4cuda17kernelHistogram1DIsslLi1ELi2ELin1ELNS0_23CUDAHistogramMemoryTypeE1EZNS0_21CUDA_tensor_histogramIssLb0EEEbNS_6TensorES4_S4_lNS_14AccumulateTypeIT0_Lb1EE4typeES8_NS0_13TensorArgTypeES9_S9_EUllE0_EEvNS0_6detail10TensorInfoIT_T1_EESF_NSC_IKS6_SE_EElS8_S8_SE_T6_, .Lfunc_end75-_ZN2at4cuda17kernelHistogram1DIsslLi1ELi2ELin1ELNS0_23CUDAHistogramMemoryTypeE1EZNS0_21CUDA_tensor_histogramIssLb0EEEbNS_6TensorES4_S4_lNS_14AccumulateTypeIT0_Lb1EE4typeES8_NS0_13TensorArgTypeES9_S9_EUllE0_EEvNS0_6detail10TensorInfoIT_T1_EESF_NSC_IKS6_SE_EElS8_S8_SE_T6_
                                        ; -- End function
	.section	.AMDGPU.csdata,"",@progbits
; Kernel info:
; codeLenInByte = 2364
; NumSgprs: 46
; NumVgprs: 18
; NumAgprs: 0
; TotalNumVgprs: 18
; ScratchSize: 0
; MemoryBound: 0
; FloatMode: 240
; IeeeMode: 1
; LDSByteSize: 0 bytes/workgroup (compile time only)
; SGPRBlocks: 5
; VGPRBlocks: 2
; NumSGPRsForWavesPerEU: 46
; NumVGPRsForWavesPerEU: 18
; AccumOffset: 20
; Occupancy: 8
; WaveLimiterHint : 1
; COMPUTE_PGM_RSRC2:SCRATCH_EN: 0
; COMPUTE_PGM_RSRC2:USER_SGPR: 6
; COMPUTE_PGM_RSRC2:TRAP_HANDLER: 0
; COMPUTE_PGM_RSRC2:TGID_X_EN: 1
; COMPUTE_PGM_RSRC2:TGID_Y_EN: 0
; COMPUTE_PGM_RSRC2:TGID_Z_EN: 0
; COMPUTE_PGM_RSRC2:TIDIG_COMP_CNT: 0
; COMPUTE_PGM_RSRC3_GFX90A:ACCUM_OFFSET: 4
; COMPUTE_PGM_RSRC3_GFX90A:TG_SPLIT: 0
	.section	.text._ZN2at4cuda17kernelHistogram1DIddlLi1ELi2ELin1ELNS0_23CUDAHistogramMemoryTypeE0EZNS0_21CUDA_tensor_histogramIddLb0EEEbNS_6TensorES4_S4_lNS_14AccumulateTypeIT0_Lb1EE4typeES8_NS0_13TensorArgTypeES9_S9_EUllE_EEvNS0_6detail10TensorInfoIT_T1_EESF_NSC_IKS6_SE_EElS8_S8_SE_T6_,"axG",@progbits,_ZN2at4cuda17kernelHistogram1DIddlLi1ELi2ELin1ELNS0_23CUDAHistogramMemoryTypeE0EZNS0_21CUDA_tensor_histogramIddLb0EEEbNS_6TensorES4_S4_lNS_14AccumulateTypeIT0_Lb1EE4typeES8_NS0_13TensorArgTypeES9_S9_EUllE_EEvNS0_6detail10TensorInfoIT_T1_EESF_NSC_IKS6_SE_EElS8_S8_SE_T6_,comdat
	.protected	_ZN2at4cuda17kernelHistogram1DIddlLi1ELi2ELin1ELNS0_23CUDAHistogramMemoryTypeE0EZNS0_21CUDA_tensor_histogramIddLb0EEEbNS_6TensorES4_S4_lNS_14AccumulateTypeIT0_Lb1EE4typeES8_NS0_13TensorArgTypeES9_S9_EUllE_EEvNS0_6detail10TensorInfoIT_T1_EESF_NSC_IKS6_SE_EElS8_S8_SE_T6_ ; -- Begin function _ZN2at4cuda17kernelHistogram1DIddlLi1ELi2ELin1ELNS0_23CUDAHistogramMemoryTypeE0EZNS0_21CUDA_tensor_histogramIddLb0EEEbNS_6TensorES4_S4_lNS_14AccumulateTypeIT0_Lb1EE4typeES8_NS0_13TensorArgTypeES9_S9_EUllE_EEvNS0_6detail10TensorInfoIT_T1_EESF_NSC_IKS6_SE_EElS8_S8_SE_T6_
	.globl	_ZN2at4cuda17kernelHistogram1DIddlLi1ELi2ELin1ELNS0_23CUDAHistogramMemoryTypeE0EZNS0_21CUDA_tensor_histogramIddLb0EEEbNS_6TensorES4_S4_lNS_14AccumulateTypeIT0_Lb1EE4typeES8_NS0_13TensorArgTypeES9_S9_EUllE_EEvNS0_6detail10TensorInfoIT_T1_EESF_NSC_IKS6_SE_EElS8_S8_SE_T6_
	.p2align	8
	.type	_ZN2at4cuda17kernelHistogram1DIddlLi1ELi2ELin1ELNS0_23CUDAHistogramMemoryTypeE0EZNS0_21CUDA_tensor_histogramIddLb0EEEbNS_6TensorES4_S4_lNS_14AccumulateTypeIT0_Lb1EE4typeES8_NS0_13TensorArgTypeES9_S9_EUllE_EEvNS0_6detail10TensorInfoIT_T1_EESF_NSC_IKS6_SE_EElS8_S8_SE_T6_,@function
_ZN2at4cuda17kernelHistogram1DIddlLi1ELi2ELin1ELNS0_23CUDAHistogramMemoryTypeE0EZNS0_21CUDA_tensor_histogramIddLb0EEEbNS_6TensorES4_S4_lNS_14AccumulateTypeIT0_Lb1EE4typeES8_NS0_13TensorArgTypeES9_S9_EUllE_EEvNS0_6detail10TensorInfoIT_T1_EESF_NSC_IKS6_SE_EElS8_S8_SE_T6_: ; @_ZN2at4cuda17kernelHistogram1DIddlLi1ELi2ELin1ELNS0_23CUDAHistogramMemoryTypeE0EZNS0_21CUDA_tensor_histogramIddLb0EEEbNS_6TensorES4_S4_lNS_14AccumulateTypeIT0_Lb1EE4typeES8_NS0_13TensorArgTypeES9_S9_EUllE_EEvNS0_6detail10TensorInfoIT_T1_EESF_NSC_IKS6_SE_EElS8_S8_SE_T6_
; %bb.0:
	s_load_dwordx4 s[16:19], s[4:5], 0x0
	s_load_dwordx2 s[20:21], s[4:5], 0x500
	s_load_dwordx8 s[8:15], s[4:5], 0x4e0
	v_mov_b32_e32 v1, 0
	s_add_u32 s2, s4, 0x6a0
	s_waitcnt lgkmcnt(0)
	v_cmp_gt_i64_e64 s[0:1], s[18:19], v[0:1]
	v_cmp_le_i64_e32 vcc, s[18:19], v[0:1]
	s_addc_u32 s3, s5, 0
                                        ; implicit-def: $sgpr7
                                        ; implicit-def: $sgpr28
	s_and_saveexec_b64 s[22:23], vcc
	s_xor_b64 s[22:23], exec, s[22:23]
	s_cbranch_execz .LBB76_2
; %bb.1:
	s_load_dword s7, s[2:3], 0xc
	s_waitcnt lgkmcnt(0)
	s_and_b32 s28, s7, 0xffff
.LBB76_2:
	s_or_saveexec_b64 s[26:27], s[22:23]
	s_load_dwordx2 s[22:23], s[4:5], 0xd0
	s_load_dwordx2 s[24:25], s[4:5], 0x5d0
	v_mov_b32_e32 v19, s7
	v_mov_b32_e32 v18, s28
	v_lshl_add_u32 v11, v0, 3, 0
	s_xor_b64 exec, exec, s[26:27]
	s_cbranch_execz .LBB76_6
; %bb.3:
	s_load_dword s7, s[2:3], 0xc
	s_mov_b32 s33, 0
	v_mov_b32_e32 v2, 0
	v_lshl_add_u32 v6, v0, 3, 0
	s_mov_b64 s[28:29], 0
	s_waitcnt lgkmcnt(0)
	s_and_b32 s30, s7, 0xffff
	s_lshl_b32 s31, s30, 3
	v_mov_b32_e32 v3, v2
	v_mov_b32_e32 v7, s33
	v_pk_mov_b32 v[4:5], v[0:1], v[0:1] op_sel:[0,1]
.LBB76_4:                               ; =>This Inner Loop Header: Depth=1
	v_add_co_u32_e32 v4, vcc, s30, v4
	v_addc_co_u32_e32 v5, vcc, v5, v7, vcc
	v_cmp_le_i64_e32 vcc, s[18:19], v[4:5]
	ds_write_b64 v6, v[2:3]
	s_or_b64 s[28:29], vcc, s[28:29]
	v_add_u32_e32 v6, s31, v6
	s_andn2_b64 exec, exec, s[28:29]
	s_cbranch_execnz .LBB76_4
; %bb.5:
	s_or_b64 exec, exec, s[28:29]
	v_mov_b32_e32 v19, s7
	v_mov_b32_e32 v18, s30
.LBB76_6:
	s_or_b64 exec, exec, s[26:27]
	v_mad_u64_u32 v[2:3], s[6:7], s6, v18, v[0:1]
	v_mov_b32_e32 v4, 0
	v_mov_b32_e32 v3, v4
	v_cmp_gt_i64_e32 vcc, s[14:15], v[2:3]
	s_waitcnt lgkmcnt(0)
	s_barrier
	s_and_saveexec_b64 s[6:7], vcc
	s_cbranch_execz .LBB76_18
; %bb.7:
	s_load_dword s30, s[4:5], 0x4d8
	s_load_dwordx2 s[26:27], s[4:5], 0x410
	s_load_dwordx2 s[28:29], s[4:5], 0x340
	s_add_u32 s31, s4, 0x340
	s_load_dword s2, s[2:3], 0x0
	s_addc_u32 s34, s5, 0
	s_waitcnt lgkmcnt(0)
	s_cmp_gt_i32 s30, 1
	s_mov_b32 s3, 0
	s_cselect_b64 s[4:5], -1, 0
	v_mul_lo_u32 v10, s2, v18
	s_add_i32 s2, s30, -1
	s_add_i32 s33, s30, 1
	s_lshl_b64 s[2:3], s[2:3], 3
	v_cvt_f64_i32_e32 v[6:7], s9
	s_add_u32 s2, s2, s31
	v_ldexp_f64 v[6:7], v[6:7], 32
	v_cvt_f64_u32_e32 v[8:9], s8
	s_addc_u32 s3, s3, s34
	v_add_f64 v[6:7], v[6:7], v[8:9]
	v_pk_mov_b32 v[8:9], s[10:11], s[10:11] op_sel:[0,1]
	s_add_u32 s30, s2, 8
	v_cndmask_b32_e64 v5, 0, 1, s[4:5]
	v_add_f64 v[8:9], s[12:13], -v[8:9]
	s_addc_u32 s31, s3, 0
	s_mov_b64 s[34:35], 0
	v_cmp_ne_u32_e64 s[2:3], 1, v5
	s_mov_b64 s[36:37], src_shared_base
	s_branch .LBB76_9
.LBB76_8:                               ;   in Loop: Header=BB76_9 Depth=1
	s_or_b64 exec, exec, s[4:5]
	v_add_co_u32_e32 v2, vcc, v2, v10
	v_addc_co_u32_e32 v3, vcc, 0, v3, vcc
	v_cmp_le_i64_e32 vcc, s[14:15], v[2:3]
	s_or_b64 s[34:35], vcc, s[34:35]
	s_andn2_b64 exec, exec, s[34:35]
	s_cbranch_execz .LBB76_18
.LBB76_9:                               ; =>This Loop Header: Depth=1
                                        ;     Child Loop BB76_10 Depth 2
	s_and_b64 vcc, exec, s[2:3]
	v_pk_mov_b32 v[12:13], 0, 0
	s_mov_b64 s[38:39], s[30:31]
	s_mov_b32 s36, s33
	v_pk_mov_b32 v[14:15], v[2:3], v[2:3] op_sel:[0,1]
	v_pk_mov_b32 v[16:17], v[2:3], v[2:3] op_sel:[0,1]
	s_cbranch_vccnz .LBB76_16
.LBB76_10:                              ;   Parent Loop BB76_9 Depth=1
                                        ; =>  This Inner Loop Header: Depth=2
	s_load_dwordx2 s[40:41], s[38:39], 0x0
                                        ; implicit-def: $vgpr16_vgpr17
	s_waitcnt lgkmcnt(0)
	v_or_b32_e32 v5, s41, v15
	v_cmp_ne_u64_e32 vcc, 0, v[4:5]
	s_and_saveexec_b64 s[4:5], vcc
	s_xor_b64 s[42:43], exec, s[4:5]
	s_cbranch_execz .LBB76_12
; %bb.11:                               ;   in Loop: Header=BB76_10 Depth=2
	s_ashr_i32 s44, s41, 31
	s_add_u32 s4, s40, s44
	s_mov_b32 s45, s44
	s_addc_u32 s5, s41, s44
	s_xor_b64 s[46:47], s[4:5], s[44:45]
	v_cvt_f32_u32_e32 v5, s46
	v_cvt_f32_u32_e32 v16, s47
	s_sub_u32 s4, 0, s46
	s_subb_u32 s5, 0, s47
	v_mac_f32_e32 v5, 0x4f800000, v16
	v_rcp_f32_e32 v5, v5
	v_mul_f32_e32 v5, 0x5f7ffffc, v5
	v_mul_f32_e32 v16, 0x2f800000, v5
	v_trunc_f32_e32 v16, v16
	v_mac_f32_e32 v5, 0xcf800000, v16
	v_cvt_u32_f32_e32 v16, v16
	v_cvt_u32_f32_e32 v5, v5
	v_mul_lo_u32 v17, s4, v16
	v_mul_hi_u32 v21, s4, v5
	v_mul_lo_u32 v20, s5, v5
	v_add_u32_e32 v17, v21, v17
	v_mul_lo_u32 v22, s4, v5
	v_add_u32_e32 v17, v17, v20
	v_mul_lo_u32 v21, v5, v17
	v_mul_hi_u32 v23, v5, v22
	v_mul_hi_u32 v20, v5, v17
	v_add_co_u32_e32 v21, vcc, v23, v21
	v_addc_co_u32_e32 v20, vcc, 0, v20, vcc
	v_mul_hi_u32 v24, v16, v22
	v_mul_lo_u32 v22, v16, v22
	v_add_co_u32_e32 v21, vcc, v21, v22
	v_mul_hi_u32 v23, v16, v17
	v_addc_co_u32_e32 v20, vcc, v20, v24, vcc
	v_addc_co_u32_e32 v21, vcc, 0, v23, vcc
	v_mul_lo_u32 v17, v16, v17
	v_add_co_u32_e32 v17, vcc, v20, v17
	v_addc_co_u32_e32 v20, vcc, 0, v21, vcc
	v_add_co_u32_e32 v5, vcc, v5, v17
	v_addc_co_u32_e32 v16, vcc, v16, v20, vcc
	v_mul_lo_u32 v17, s4, v16
	v_mul_hi_u32 v20, s4, v5
	v_add_u32_e32 v17, v20, v17
	v_mul_lo_u32 v20, s5, v5
	v_add_u32_e32 v17, v17, v20
	v_mul_lo_u32 v21, s4, v5
	v_mul_hi_u32 v22, v16, v21
	v_mul_lo_u32 v23, v16, v21
	v_mul_lo_u32 v25, v5, v17
	v_mul_hi_u32 v21, v5, v21
	v_mul_hi_u32 v24, v5, v17
	v_add_co_u32_e32 v21, vcc, v21, v25
	v_addc_co_u32_e32 v24, vcc, 0, v24, vcc
	v_add_co_u32_e32 v21, vcc, v21, v23
	v_mul_hi_u32 v20, v16, v17
	v_addc_co_u32_e32 v21, vcc, v24, v22, vcc
	v_addc_co_u32_e32 v20, vcc, 0, v20, vcc
	v_mul_lo_u32 v17, v16, v17
	v_add_co_u32_e32 v17, vcc, v21, v17
	v_addc_co_u32_e32 v20, vcc, 0, v20, vcc
	v_add_co_u32_e32 v5, vcc, v5, v17
	v_addc_co_u32_e32 v20, vcc, v16, v20, vcc
	v_ashrrev_i32_e32 v22, 31, v15
	v_add_co_u32_e32 v16, vcc, v14, v22
	v_addc_co_u32_e32 v17, vcc, v15, v22, vcc
	v_xor_b32_e32 v24, v16, v22
	v_xor_b32_e32 v23, v17, v22
	v_mad_u64_u32 v[16:17], s[4:5], v24, v20, 0
	v_mul_hi_u32 v21, v24, v5
	v_add_co_u32_e32 v25, vcc, v21, v16
	v_addc_co_u32_e32 v26, vcc, 0, v17, vcc
	v_mad_u64_u32 v[16:17], s[4:5], v23, v20, 0
	v_mad_u64_u32 v[20:21], s[4:5], v23, v5, 0
	v_add_co_u32_e32 v5, vcc, v25, v20
	v_addc_co_u32_e32 v5, vcc, v26, v21, vcc
	v_addc_co_u32_e32 v17, vcc, 0, v17, vcc
	v_add_co_u32_e32 v5, vcc, v5, v16
	v_addc_co_u32_e32 v20, vcc, 0, v17, vcc
	v_mul_lo_u32 v21, s47, v5
	v_mul_lo_u32 v25, s46, v20
	v_mad_u64_u32 v[16:17], s[4:5], s46, v5, 0
	v_add3_u32 v17, v17, v25, v21
	v_sub_u32_e32 v21, v23, v17
	v_mov_b32_e32 v25, s47
	v_sub_co_u32_e32 v16, vcc, v24, v16
	v_subb_co_u32_e64 v21, s[4:5], v21, v25, vcc
	v_subrev_co_u32_e64 v24, s[4:5], s46, v16
	v_subbrev_co_u32_e64 v21, s[4:5], 0, v21, s[4:5]
	v_cmp_le_u32_e64 s[4:5], s47, v21
	v_cndmask_b32_e64 v25, 0, -1, s[4:5]
	v_cmp_le_u32_e64 s[4:5], s46, v24
	v_cndmask_b32_e64 v24, 0, -1, s[4:5]
	v_cmp_eq_u32_e64 s[4:5], s47, v21
	v_cndmask_b32_e64 v21, v25, v24, s[4:5]
	v_add_co_u32_e64 v24, s[4:5], 2, v5
	v_subb_co_u32_e32 v17, vcc, v23, v17, vcc
	v_addc_co_u32_e64 v25, s[4:5], 0, v20, s[4:5]
	v_cmp_le_u32_e32 vcc, s47, v17
	v_add_co_u32_e64 v26, s[4:5], 1, v5
	v_cndmask_b32_e64 v23, 0, -1, vcc
	v_cmp_le_u32_e32 vcc, s46, v16
	v_addc_co_u32_e64 v27, s[4:5], 0, v20, s[4:5]
	v_cndmask_b32_e64 v16, 0, -1, vcc
	v_cmp_eq_u32_e32 vcc, s47, v17
	v_cmp_ne_u32_e64 s[4:5], 0, v21
	v_cndmask_b32_e32 v16, v23, v16, vcc
	v_cmp_ne_u32_e32 vcc, 0, v16
	v_cndmask_b32_e64 v17, v26, v24, s[4:5]
	v_cndmask_b32_e64 v21, v27, v25, s[4:5]
	v_cndmask_b32_e32 v5, v5, v17, vcc
	v_xor_b32_e32 v17, s44, v22
	v_cndmask_b32_e32 v16, v20, v21, vcc
	v_xor_b32_e32 v5, v5, v17
	v_xor_b32_e32 v20, v16, v17
	v_sub_co_u32_e32 v16, vcc, v5, v17
	v_subb_co_u32_e32 v17, vcc, v20, v17, vcc
.LBB76_12:                              ;   in Loop: Header=BB76_10 Depth=2
	s_andn2_saveexec_b64 s[4:5], s[42:43]
	s_cbranch_execz .LBB76_14
; %bb.13:                               ;   in Loop: Header=BB76_10 Depth=2
	v_cvt_f32_u32_e32 v5, s40
	s_sub_i32 s42, 0, s40
	v_rcp_iflag_f32_e32 v5, v5
	v_mul_f32_e32 v5, 0x4f7ffffe, v5
	v_cvt_u32_f32_e32 v5, v5
	v_mul_lo_u32 v16, s42, v5
	v_mul_hi_u32 v16, v5, v16
	v_add_u32_e32 v5, v5, v16
	v_mul_hi_u32 v5, v14, v5
	v_mul_lo_u32 v16, v5, s40
	v_sub_u32_e32 v16, v14, v16
	v_add_u32_e32 v17, 1, v5
	v_subrev_u32_e32 v20, s40, v16
	v_cmp_le_u32_e32 vcc, s40, v16
	v_cndmask_b32_e32 v16, v16, v20, vcc
	v_cndmask_b32_e32 v5, v5, v17, vcc
	v_add_u32_e32 v17, 1, v5
	v_cmp_le_u32_e32 vcc, s40, v16
	v_cndmask_b32_e32 v16, v5, v17, vcc
	v_mov_b32_e32 v17, v4
.LBB76_14:                              ;   in Loop: Header=BB76_10 Depth=2
	s_or_b64 exec, exec, s[4:5]
	v_mad_u64_u32 v[20:21], s[4:5], v16, s40, 0
	s_load_dwordx2 s[4:5], s[38:39], 0xc8
	v_mul_lo_u32 v5, v17, s40
	v_mul_lo_u32 v22, v16, s41
	v_add3_u32 v5, v21, v22, v5
	v_sub_co_u32_e32 v14, vcc, v14, v20
	s_add_i32 s36, s36, -1
	v_subb_co_u32_e32 v5, vcc, v15, v5, vcc
	s_add_u32 s38, s38, -8
	s_waitcnt lgkmcnt(0)
	v_mul_lo_u32 v5, s4, v5
	v_mul_lo_u32 v15, s5, v14
	v_mad_u64_u32 v[12:13], s[4:5], s4, v14, v[12:13]
	s_addc_u32 s39, s39, -1
	s_cmp_gt_u32 s36, 2
	v_add3_u32 v13, v15, v13, v5
	s_cbranch_scc0 .LBB76_16
; %bb.15:                               ;   in Loop: Header=BB76_10 Depth=2
	v_pk_mov_b32 v[14:15], v[16:17], v[16:17] op_sel:[0,1]
	s_branch .LBB76_10
.LBB76_16:                              ;   in Loop: Header=BB76_9 Depth=1
	v_mul_lo_u32 v5, s27, v16
	v_mul_lo_u32 v17, s26, v17
	v_mad_u64_u32 v[14:15], s[4:5], s26, v16, 0
	v_add3_u32 v15, v15, v17, v5
	v_lshlrev_b64 v[14:15], 3, v[14:15]
	v_mov_b32_e32 v5, s29
	v_add_co_u32_e32 v14, vcc, s28, v14
	v_addc_co_u32_e32 v5, vcc, v5, v15, vcc
	v_lshlrev_b64 v[12:13], 3, v[12:13]
	v_add_co_u32_e32 v12, vcc, v14, v12
	v_addc_co_u32_e32 v13, vcc, v5, v13, vcc
	global_load_dwordx2 v[12:13], v[12:13], off
	s_waitcnt vmcnt(0)
	v_cmp_le_f64_e32 vcc, s[10:11], v[12:13]
	v_cmp_ge_f64_e64 s[4:5], s[12:13], v[12:13]
	s_and_b64 s[38:39], vcc, s[4:5]
	s_and_saveexec_b64 s[4:5], s[38:39]
	s_cbranch_execz .LBB76_8
; %bb.17:                               ;   in Loop: Header=BB76_9 Depth=1
	v_mul_lo_u32 v5, v3, s24
	v_mul_lo_u32 v16, v2, s25
	v_mad_u64_u32 v[14:15], s[38:39], v2, s24, 0
	v_add3_u32 v15, v15, v16, v5
	v_lshlrev_b64 v[14:15], 3, v[14:15]
	v_mov_b32_e32 v5, s21
	v_add_co_u32_e32 v14, vcc, s20, v14
	v_addc_co_u32_e32 v15, vcc, v5, v15, vcc
	global_load_dwordx2 v[14:15], v[14:15], off
	v_add_f64 v[12:13], v[12:13], -s[10:11]
	v_mul_f64 v[12:13], v[12:13], v[6:7]
	v_div_scale_f64 v[16:17], s[38:39], v[8:9], v[8:9], v[12:13]
	v_rcp_f64_e32 v[20:21], v[16:17]
	v_fma_f64 v[22:23], -v[16:17], v[20:21], 1.0
	v_fmac_f64_e32 v[20:21], v[20:21], v[22:23]
	v_fma_f64 v[22:23], -v[16:17], v[20:21], 1.0
	v_fmac_f64_e32 v[20:21], v[20:21], v[22:23]
	v_div_scale_f64 v[22:23], vcc, v[12:13], v[8:9], v[12:13]
	v_mul_f64 v[24:25], v[22:23], v[20:21]
	v_fma_f64 v[16:17], -v[16:17], v[24:25], v[22:23]
	s_nop 1
	v_div_fmas_f64 v[16:17], v[16:17], v[20:21], v[24:25]
	v_div_fixup_f64 v[12:13], v[16:17], v[8:9], v[12:13]
	v_cvt_i32_f64_e32 v12, v[12:13]
	v_ashrrev_i32_e32 v13, 31, v12
	v_cmp_eq_u64_e32 vcc, s[8:9], v[12:13]
	v_cndmask_b32_e64 v5, 0, -1, vcc
	v_lshlrev_b32_e32 v5, 3, v5
	v_lshlrev_b32_e32 v12, 3, v12
	v_add3_u32 v12, 0, v5, v12
	v_mov_b32_e32 v13, s37
	s_waitcnt vmcnt(0)
	flat_atomic_add_f64 v[12:13], v[14:15]
	s_branch .LBB76_8
.LBB76_18:
	s_or_b64 exec, exec, s[6:7]
; %bb.19:
	s_waitcnt lgkmcnt(0)
	s_barrier
	s_and_saveexec_b64 s[2:3], s[0:1]
	s_cbranch_execz .LBB76_22
; %bb.20:
	v_mad_u64_u32 v[4:5], s[0:1], s22, v0, 0
	v_mov_b32_e32 v6, v5
	v_and_b32_e32 v2, 0xffff, v19
	v_mad_u64_u32 v[6:7], s[0:1], s23, v0, v[6:7]
	v_mov_b32_e32 v5, v6
	v_mad_u64_u32 v[6:7], s[0:1], s22, v2, 0
	v_mov_b32_e32 v8, v7
	v_lshlrev_b64 v[4:5], 3, v[4:5]
	v_mad_u64_u32 v[8:9], s[0:1], s23, v2, v[8:9]
	v_mov_b32_e32 v3, s17
	v_add_co_u32_e32 v4, vcc, s16, v4
	v_mov_b32_e32 v7, v8
	v_addc_co_u32_e32 v5, vcc, v3, v5, vcc
	v_lshlrev_b64 v[6:7], 3, v[6:7]
	v_lshlrev_b32_e32 v3, 3, v18
	s_mov_b64 s[0:1], 0
.LBB76_21:                              ; =>This Inner Loop Header: Depth=1
	ds_read_b64 v[8:9], v11
	v_add_co_u32_e32 v0, vcc, v0, v2
	v_addc_co_u32_e32 v1, vcc, 0, v1, vcc
	s_waitcnt lgkmcnt(0)
	global_atomic_add_f64 v[4:5], v[8:9], off
	v_cmp_le_i64_e32 vcc, s[18:19], v[0:1]
	s_or_b64 s[0:1], vcc, s[0:1]
	v_add_co_u32_e32 v4, vcc, v4, v6
	v_add_u32_e32 v11, v11, v3
	v_addc_co_u32_e32 v5, vcc, v5, v7, vcc
	s_andn2_b64 exec, exec, s[0:1]
	s_cbranch_execnz .LBB76_21
.LBB76_22:
	s_endpgm
	.section	.rodata,"a",@progbits
	.p2align	6, 0x0
	.amdhsa_kernel _ZN2at4cuda17kernelHistogram1DIddlLi1ELi2ELin1ELNS0_23CUDAHistogramMemoryTypeE0EZNS0_21CUDA_tensor_histogramIddLb0EEEbNS_6TensorES4_S4_lNS_14AccumulateTypeIT0_Lb1EE4typeES8_NS0_13TensorArgTypeES9_S9_EUllE_EEvNS0_6detail10TensorInfoIT_T1_EESF_NSC_IKS6_SE_EElS8_S8_SE_T6_
		.amdhsa_group_segment_fixed_size 0
		.amdhsa_private_segment_fixed_size 0
		.amdhsa_kernarg_size 1952
		.amdhsa_user_sgpr_count 6
		.amdhsa_user_sgpr_private_segment_buffer 1
		.amdhsa_user_sgpr_dispatch_ptr 0
		.amdhsa_user_sgpr_queue_ptr 0
		.amdhsa_user_sgpr_kernarg_segment_ptr 1
		.amdhsa_user_sgpr_dispatch_id 0
		.amdhsa_user_sgpr_flat_scratch_init 0
		.amdhsa_user_sgpr_kernarg_preload_length 0
		.amdhsa_user_sgpr_kernarg_preload_offset 0
		.amdhsa_user_sgpr_private_segment_size 0
		.amdhsa_uses_dynamic_stack 0
		.amdhsa_system_sgpr_private_segment_wavefront_offset 0
		.amdhsa_system_sgpr_workgroup_id_x 1
		.amdhsa_system_sgpr_workgroup_id_y 0
		.amdhsa_system_sgpr_workgroup_id_z 0
		.amdhsa_system_sgpr_workgroup_info 0
		.amdhsa_system_vgpr_workitem_id 0
		.amdhsa_next_free_vgpr 28
		.amdhsa_next_free_sgpr 48
		.amdhsa_accum_offset 28
		.amdhsa_reserve_vcc 1
		.amdhsa_reserve_flat_scratch 0
		.amdhsa_float_round_mode_32 0
		.amdhsa_float_round_mode_16_64 0
		.amdhsa_float_denorm_mode_32 3
		.amdhsa_float_denorm_mode_16_64 3
		.amdhsa_dx10_clamp 1
		.amdhsa_ieee_mode 1
		.amdhsa_fp16_overflow 0
		.amdhsa_tg_split 0
		.amdhsa_exception_fp_ieee_invalid_op 0
		.amdhsa_exception_fp_denorm_src 0
		.amdhsa_exception_fp_ieee_div_zero 0
		.amdhsa_exception_fp_ieee_overflow 0
		.amdhsa_exception_fp_ieee_underflow 0
		.amdhsa_exception_fp_ieee_inexact 0
		.amdhsa_exception_int_div_zero 0
	.end_amdhsa_kernel
	.section	.text._ZN2at4cuda17kernelHistogram1DIddlLi1ELi2ELin1ELNS0_23CUDAHistogramMemoryTypeE0EZNS0_21CUDA_tensor_histogramIddLb0EEEbNS_6TensorES4_S4_lNS_14AccumulateTypeIT0_Lb1EE4typeES8_NS0_13TensorArgTypeES9_S9_EUllE_EEvNS0_6detail10TensorInfoIT_T1_EESF_NSC_IKS6_SE_EElS8_S8_SE_T6_,"axG",@progbits,_ZN2at4cuda17kernelHistogram1DIddlLi1ELi2ELin1ELNS0_23CUDAHistogramMemoryTypeE0EZNS0_21CUDA_tensor_histogramIddLb0EEEbNS_6TensorES4_S4_lNS_14AccumulateTypeIT0_Lb1EE4typeES8_NS0_13TensorArgTypeES9_S9_EUllE_EEvNS0_6detail10TensorInfoIT_T1_EESF_NSC_IKS6_SE_EElS8_S8_SE_T6_,comdat
.Lfunc_end76:
	.size	_ZN2at4cuda17kernelHistogram1DIddlLi1ELi2ELin1ELNS0_23CUDAHistogramMemoryTypeE0EZNS0_21CUDA_tensor_histogramIddLb0EEEbNS_6TensorES4_S4_lNS_14AccumulateTypeIT0_Lb1EE4typeES8_NS0_13TensorArgTypeES9_S9_EUllE_EEvNS0_6detail10TensorInfoIT_T1_EESF_NSC_IKS6_SE_EElS8_S8_SE_T6_, .Lfunc_end76-_ZN2at4cuda17kernelHistogram1DIddlLi1ELi2ELin1ELNS0_23CUDAHistogramMemoryTypeE0EZNS0_21CUDA_tensor_histogramIddLb0EEEbNS_6TensorES4_S4_lNS_14AccumulateTypeIT0_Lb1EE4typeES8_NS0_13TensorArgTypeES9_S9_EUllE_EEvNS0_6detail10TensorInfoIT_T1_EESF_NSC_IKS6_SE_EElS8_S8_SE_T6_
                                        ; -- End function
	.section	.AMDGPU.csdata,"",@progbits
; Kernel info:
; codeLenInByte = 1928
; NumSgprs: 52
; NumVgprs: 28
; NumAgprs: 0
; TotalNumVgprs: 28
; ScratchSize: 0
; MemoryBound: 0
; FloatMode: 240
; IeeeMode: 1
; LDSByteSize: 0 bytes/workgroup (compile time only)
; SGPRBlocks: 6
; VGPRBlocks: 3
; NumSGPRsForWavesPerEU: 52
; NumVGPRsForWavesPerEU: 28
; AccumOffset: 28
; Occupancy: 8
; WaveLimiterHint : 1
; COMPUTE_PGM_RSRC2:SCRATCH_EN: 0
; COMPUTE_PGM_RSRC2:USER_SGPR: 6
; COMPUTE_PGM_RSRC2:TRAP_HANDLER: 0
; COMPUTE_PGM_RSRC2:TGID_X_EN: 1
; COMPUTE_PGM_RSRC2:TGID_Y_EN: 0
; COMPUTE_PGM_RSRC2:TGID_Z_EN: 0
; COMPUTE_PGM_RSRC2:TIDIG_COMP_CNT: 0
; COMPUTE_PGM_RSRC3_GFX90A:ACCUM_OFFSET: 6
; COMPUTE_PGM_RSRC3_GFX90A:TG_SPLIT: 0
	.section	.text._ZN2at4cuda17kernelHistogram1DIddlLi1ELi2ELin1ELNS0_23CUDAHistogramMemoryTypeE1EZNS0_21CUDA_tensor_histogramIddLb0EEEbNS_6TensorES4_S4_lNS_14AccumulateTypeIT0_Lb1EE4typeES8_NS0_13TensorArgTypeES9_S9_EUllE_EEvNS0_6detail10TensorInfoIT_T1_EESF_NSC_IKS6_SE_EElS8_S8_SE_T6_,"axG",@progbits,_ZN2at4cuda17kernelHistogram1DIddlLi1ELi2ELin1ELNS0_23CUDAHistogramMemoryTypeE1EZNS0_21CUDA_tensor_histogramIddLb0EEEbNS_6TensorES4_S4_lNS_14AccumulateTypeIT0_Lb1EE4typeES8_NS0_13TensorArgTypeES9_S9_EUllE_EEvNS0_6detail10TensorInfoIT_T1_EESF_NSC_IKS6_SE_EElS8_S8_SE_T6_,comdat
	.protected	_ZN2at4cuda17kernelHistogram1DIddlLi1ELi2ELin1ELNS0_23CUDAHistogramMemoryTypeE1EZNS0_21CUDA_tensor_histogramIddLb0EEEbNS_6TensorES4_S4_lNS_14AccumulateTypeIT0_Lb1EE4typeES8_NS0_13TensorArgTypeES9_S9_EUllE_EEvNS0_6detail10TensorInfoIT_T1_EESF_NSC_IKS6_SE_EElS8_S8_SE_T6_ ; -- Begin function _ZN2at4cuda17kernelHistogram1DIddlLi1ELi2ELin1ELNS0_23CUDAHistogramMemoryTypeE1EZNS0_21CUDA_tensor_histogramIddLb0EEEbNS_6TensorES4_S4_lNS_14AccumulateTypeIT0_Lb1EE4typeES8_NS0_13TensorArgTypeES9_S9_EUllE_EEvNS0_6detail10TensorInfoIT_T1_EESF_NSC_IKS6_SE_EElS8_S8_SE_T6_
	.globl	_ZN2at4cuda17kernelHistogram1DIddlLi1ELi2ELin1ELNS0_23CUDAHistogramMemoryTypeE1EZNS0_21CUDA_tensor_histogramIddLb0EEEbNS_6TensorES4_S4_lNS_14AccumulateTypeIT0_Lb1EE4typeES8_NS0_13TensorArgTypeES9_S9_EUllE_EEvNS0_6detail10TensorInfoIT_T1_EESF_NSC_IKS6_SE_EElS8_S8_SE_T6_
	.p2align	8
	.type	_ZN2at4cuda17kernelHistogram1DIddlLi1ELi2ELin1ELNS0_23CUDAHistogramMemoryTypeE1EZNS0_21CUDA_tensor_histogramIddLb0EEEbNS_6TensorES4_S4_lNS_14AccumulateTypeIT0_Lb1EE4typeES8_NS0_13TensorArgTypeES9_S9_EUllE_EEvNS0_6detail10TensorInfoIT_T1_EESF_NSC_IKS6_SE_EElS8_S8_SE_T6_,@function
_ZN2at4cuda17kernelHistogram1DIddlLi1ELi2ELin1ELNS0_23CUDAHistogramMemoryTypeE1EZNS0_21CUDA_tensor_histogramIddLb0EEEbNS_6TensorES4_S4_lNS_14AccumulateTypeIT0_Lb1EE4typeES8_NS0_13TensorArgTypeES9_S9_EUllE_EEvNS0_6detail10TensorInfoIT_T1_EESF_NSC_IKS6_SE_EElS8_S8_SE_T6_: ; @_ZN2at4cuda17kernelHistogram1DIddlLi1ELi2ELin1ELNS0_23CUDAHistogramMemoryTypeE1EZNS0_21CUDA_tensor_histogramIddLb0EEEbNS_6TensorES4_S4_lNS_14AccumulateTypeIT0_Lb1EE4typeES8_NS0_13TensorArgTypeES9_S9_EUllE_EEvNS0_6detail10TensorInfoIT_T1_EESF_NSC_IKS6_SE_EElS8_S8_SE_T6_
; %bb.0:
	s_load_dword s2, s[4:5], 0x6ac
	s_load_dwordx8 s[8:15], s[4:5], 0x4e0
	s_add_u32 s0, s4, 0x6a0
	s_addc_u32 s1, s5, 0
	v_mov_b32_e32 v2, 0
	s_waitcnt lgkmcnt(0)
	s_and_b32 s2, s2, 0xffff
	s_mul_i32 s6, s6, s2
	v_add_u32_e32 v0, s6, v0
	v_mov_b32_e32 v1, v2
	v_cmp_gt_i64_e32 vcc, s[14:15], v[0:1]
	s_and_saveexec_b64 s[6:7], vcc
	s_cbranch_execz .LBB77_12
; %bb.1:
	s_load_dwordx2 s[6:7], s[4:5], 0x5d0
	s_load_dwordx2 s[16:17], s[4:5], 0x500
	s_load_dword s3, s[4:5], 0x4d8
	s_load_dwordx2 s[18:19], s[4:5], 0x0
	s_load_dwordx2 s[20:21], s[4:5], 0xd0
	s_load_dword s28, s[0:1], 0x0
	s_add_u32 s26, s4, 0x340
	s_addc_u32 s27, s5, 0
	s_mov_b32 s40, 0
	s_waitcnt lgkmcnt(0)
	s_cmp_gt_i32 s3, 1
	s_mul_i32 s33, s28, s2
	s_cselect_b64 s[0:1], -1, 0
	s_add_i32 s41, s3, 1
	s_add_i32 s2, s3, -1
	s_mov_b32 s3, s40
	s_load_dwordx2 s[22:23], s[4:5], 0x410
	s_load_dwordx2 s[24:25], s[4:5], 0x340
	s_lshl_b64 s[2:3], s[2:3], 3
	v_cvt_f64_i32_e32 v[4:5], s9
	s_add_u32 s2, s2, s26
	v_ldexp_f64 v[4:5], v[4:5], 32
	v_cvt_f64_u32_e32 v[6:7], s8
	s_addc_u32 s3, s3, s27
	v_add_f64 v[4:5], v[4:5], v[6:7]
	v_pk_mov_b32 v[6:7], s[10:11], s[10:11] op_sel:[0,1]
	s_add_u32 s4, s2, 8
	v_cndmask_b32_e64 v3, 0, 1, s[0:1]
	v_add_f64 v[6:7], s[12:13], -v[6:7]
	s_addc_u32 s5, s3, 0
	s_mov_b64 s[26:27], 0
	v_cmp_ne_u32_e64 s[0:1], 1, v3
	s_branch .LBB77_3
.LBB77_2:                               ;   in Loop: Header=BB77_3 Depth=1
	s_or_b64 exec, exec, s[2:3]
	v_mov_b32_e32 v3, s40
	v_add_co_u32_e32 v0, vcc, s33, v0
	v_addc_co_u32_e32 v1, vcc, v1, v3, vcc
	v_cmp_le_i64_e32 vcc, s[14:15], v[0:1]
	s_or_b64 s[26:27], vcc, s[26:27]
	s_andn2_b64 exec, exec, s[26:27]
	s_cbranch_execz .LBB77_12
.LBB77_3:                               ; =>This Loop Header: Depth=1
                                        ;     Child Loop BB77_4 Depth 2
	s_and_b64 vcc, exec, s[0:1]
	v_pk_mov_b32 v[8:9], 0, 0
	s_mov_b64 s[28:29], s[4:5]
	s_mov_b32 s42, s41
	v_pk_mov_b32 v[10:11], v[0:1], v[0:1] op_sel:[0,1]
	v_pk_mov_b32 v[12:13], v[0:1], v[0:1] op_sel:[0,1]
	s_cbranch_vccnz .LBB77_10
.LBB77_4:                               ;   Parent Loop BB77_3 Depth=1
                                        ; =>  This Inner Loop Header: Depth=2
	s_load_dwordx2 s[30:31], s[28:29], 0x0
                                        ; implicit-def: $vgpr12_vgpr13
	s_waitcnt lgkmcnt(0)
	v_or_b32_e32 v3, s31, v11
	v_cmp_ne_u64_e32 vcc, 0, v[2:3]
	s_and_saveexec_b64 s[2:3], vcc
	s_xor_b64 s[34:35], exec, s[2:3]
	s_cbranch_execz .LBB77_6
; %bb.5:                                ;   in Loop: Header=BB77_4 Depth=2
	s_ashr_i32 s36, s31, 31
	s_add_u32 s2, s30, s36
	s_mov_b32 s37, s36
	s_addc_u32 s3, s31, s36
	s_xor_b64 s[38:39], s[2:3], s[36:37]
	v_cvt_f32_u32_e32 v3, s38
	v_cvt_f32_u32_e32 v12, s39
	s_sub_u32 s2, 0, s38
	s_subb_u32 s3, 0, s39
	v_mac_f32_e32 v3, 0x4f800000, v12
	v_rcp_f32_e32 v3, v3
	v_mul_f32_e32 v3, 0x5f7ffffc, v3
	v_mul_f32_e32 v12, 0x2f800000, v3
	v_trunc_f32_e32 v12, v12
	v_mac_f32_e32 v3, 0xcf800000, v12
	v_cvt_u32_f32_e32 v12, v12
	v_cvt_u32_f32_e32 v3, v3
	v_mul_lo_u32 v13, s2, v12
	v_mul_hi_u32 v15, s2, v3
	v_mul_lo_u32 v14, s3, v3
	v_add_u32_e32 v13, v15, v13
	v_mul_lo_u32 v16, s2, v3
	v_add_u32_e32 v13, v13, v14
	v_mul_lo_u32 v15, v3, v13
	v_mul_hi_u32 v17, v3, v16
	v_mul_hi_u32 v14, v3, v13
	v_add_co_u32_e32 v15, vcc, v17, v15
	v_addc_co_u32_e32 v14, vcc, 0, v14, vcc
	v_mul_hi_u32 v18, v12, v16
	v_mul_lo_u32 v16, v12, v16
	v_add_co_u32_e32 v15, vcc, v15, v16
	v_mul_hi_u32 v17, v12, v13
	v_addc_co_u32_e32 v14, vcc, v14, v18, vcc
	v_addc_co_u32_e32 v15, vcc, 0, v17, vcc
	v_mul_lo_u32 v13, v12, v13
	v_add_co_u32_e32 v13, vcc, v14, v13
	v_addc_co_u32_e32 v14, vcc, 0, v15, vcc
	v_add_co_u32_e32 v3, vcc, v3, v13
	v_addc_co_u32_e32 v12, vcc, v12, v14, vcc
	v_mul_lo_u32 v13, s2, v12
	v_mul_hi_u32 v14, s2, v3
	v_add_u32_e32 v13, v14, v13
	v_mul_lo_u32 v14, s3, v3
	v_add_u32_e32 v13, v13, v14
	v_mul_lo_u32 v15, s2, v3
	v_mul_hi_u32 v16, v12, v15
	v_mul_lo_u32 v17, v12, v15
	v_mul_lo_u32 v19, v3, v13
	v_mul_hi_u32 v15, v3, v15
	v_mul_hi_u32 v18, v3, v13
	v_add_co_u32_e32 v15, vcc, v15, v19
	v_addc_co_u32_e32 v18, vcc, 0, v18, vcc
	v_add_co_u32_e32 v15, vcc, v15, v17
	v_mul_hi_u32 v14, v12, v13
	v_addc_co_u32_e32 v15, vcc, v18, v16, vcc
	v_addc_co_u32_e32 v14, vcc, 0, v14, vcc
	v_mul_lo_u32 v13, v12, v13
	v_add_co_u32_e32 v13, vcc, v15, v13
	v_addc_co_u32_e32 v14, vcc, 0, v14, vcc
	v_add_co_u32_e32 v3, vcc, v3, v13
	v_addc_co_u32_e32 v14, vcc, v12, v14, vcc
	v_ashrrev_i32_e32 v16, 31, v11
	v_add_co_u32_e32 v12, vcc, v10, v16
	v_addc_co_u32_e32 v13, vcc, v11, v16, vcc
	v_xor_b32_e32 v18, v12, v16
	v_xor_b32_e32 v17, v13, v16
	v_mad_u64_u32 v[12:13], s[2:3], v18, v14, 0
	v_mul_hi_u32 v15, v18, v3
	v_add_co_u32_e32 v19, vcc, v15, v12
	v_addc_co_u32_e32 v20, vcc, 0, v13, vcc
	v_mad_u64_u32 v[12:13], s[2:3], v17, v14, 0
	v_mad_u64_u32 v[14:15], s[2:3], v17, v3, 0
	v_add_co_u32_e32 v3, vcc, v19, v14
	v_addc_co_u32_e32 v3, vcc, v20, v15, vcc
	v_addc_co_u32_e32 v13, vcc, 0, v13, vcc
	v_add_co_u32_e32 v3, vcc, v3, v12
	v_addc_co_u32_e32 v14, vcc, 0, v13, vcc
	v_mul_lo_u32 v15, s39, v3
	v_mul_lo_u32 v19, s38, v14
	v_mad_u64_u32 v[12:13], s[2:3], s38, v3, 0
	v_add3_u32 v13, v13, v19, v15
	v_sub_u32_e32 v15, v17, v13
	v_mov_b32_e32 v19, s39
	v_sub_co_u32_e32 v12, vcc, v18, v12
	v_subb_co_u32_e64 v15, s[2:3], v15, v19, vcc
	v_subrev_co_u32_e64 v18, s[2:3], s38, v12
	v_subbrev_co_u32_e64 v15, s[2:3], 0, v15, s[2:3]
	v_cmp_le_u32_e64 s[2:3], s39, v15
	v_cndmask_b32_e64 v19, 0, -1, s[2:3]
	v_cmp_le_u32_e64 s[2:3], s38, v18
	v_cndmask_b32_e64 v18, 0, -1, s[2:3]
	v_cmp_eq_u32_e64 s[2:3], s39, v15
	v_cndmask_b32_e64 v15, v19, v18, s[2:3]
	v_add_co_u32_e64 v18, s[2:3], 2, v3
	v_subb_co_u32_e32 v13, vcc, v17, v13, vcc
	v_addc_co_u32_e64 v19, s[2:3], 0, v14, s[2:3]
	v_cmp_le_u32_e32 vcc, s39, v13
	v_add_co_u32_e64 v20, s[2:3], 1, v3
	v_cndmask_b32_e64 v17, 0, -1, vcc
	v_cmp_le_u32_e32 vcc, s38, v12
	v_addc_co_u32_e64 v21, s[2:3], 0, v14, s[2:3]
	v_cndmask_b32_e64 v12, 0, -1, vcc
	v_cmp_eq_u32_e32 vcc, s39, v13
	v_cmp_ne_u32_e64 s[2:3], 0, v15
	v_cndmask_b32_e32 v12, v17, v12, vcc
	v_cmp_ne_u32_e32 vcc, 0, v12
	v_cndmask_b32_e64 v13, v20, v18, s[2:3]
	v_cndmask_b32_e64 v15, v21, v19, s[2:3]
	v_cndmask_b32_e32 v3, v3, v13, vcc
	v_xor_b32_e32 v13, s36, v16
	v_cndmask_b32_e32 v12, v14, v15, vcc
	v_xor_b32_e32 v3, v3, v13
	v_xor_b32_e32 v14, v12, v13
	v_sub_co_u32_e32 v12, vcc, v3, v13
	v_subb_co_u32_e32 v13, vcc, v14, v13, vcc
.LBB77_6:                               ;   in Loop: Header=BB77_4 Depth=2
	s_andn2_saveexec_b64 s[2:3], s[34:35]
	s_cbranch_execz .LBB77_8
; %bb.7:                                ;   in Loop: Header=BB77_4 Depth=2
	v_cvt_f32_u32_e32 v3, s30
	s_sub_i32 s34, 0, s30
	v_rcp_iflag_f32_e32 v3, v3
	v_mul_f32_e32 v3, 0x4f7ffffe, v3
	v_cvt_u32_f32_e32 v3, v3
	v_mul_lo_u32 v12, s34, v3
	v_mul_hi_u32 v12, v3, v12
	v_add_u32_e32 v3, v3, v12
	v_mul_hi_u32 v3, v10, v3
	v_mul_lo_u32 v12, v3, s30
	v_sub_u32_e32 v12, v10, v12
	v_add_u32_e32 v13, 1, v3
	v_subrev_u32_e32 v14, s30, v12
	v_cmp_le_u32_e32 vcc, s30, v12
	v_cndmask_b32_e32 v12, v12, v14, vcc
	v_cndmask_b32_e32 v3, v3, v13, vcc
	v_add_u32_e32 v13, 1, v3
	v_cmp_le_u32_e32 vcc, s30, v12
	v_cndmask_b32_e32 v12, v3, v13, vcc
	v_mov_b32_e32 v13, v2
.LBB77_8:                               ;   in Loop: Header=BB77_4 Depth=2
	s_or_b64 exec, exec, s[2:3]
	v_mad_u64_u32 v[14:15], s[2:3], v12, s30, 0
	s_load_dwordx2 s[2:3], s[28:29], 0xc8
	v_mul_lo_u32 v3, v13, s30
	v_mul_lo_u32 v16, v12, s31
	v_add3_u32 v3, v15, v16, v3
	v_sub_co_u32_e32 v10, vcc, v10, v14
	s_add_i32 s42, s42, -1
	v_subb_co_u32_e32 v3, vcc, v11, v3, vcc
	s_add_u32 s28, s28, -8
	s_waitcnt lgkmcnt(0)
	v_mul_lo_u32 v3, s2, v3
	v_mul_lo_u32 v11, s3, v10
	v_mad_u64_u32 v[8:9], s[2:3], s2, v10, v[8:9]
	s_addc_u32 s29, s29, -1
	s_cmp_gt_u32 s42, 2
	v_add3_u32 v9, v11, v9, v3
	s_cbranch_scc0 .LBB77_10
; %bb.9:                                ;   in Loop: Header=BB77_4 Depth=2
	v_pk_mov_b32 v[10:11], v[12:13], v[12:13] op_sel:[0,1]
	s_branch .LBB77_4
.LBB77_10:                              ;   in Loop: Header=BB77_3 Depth=1
	s_waitcnt lgkmcnt(0)
	v_mul_lo_u32 v3, s23, v12
	v_mul_lo_u32 v13, s22, v13
	v_mad_u64_u32 v[10:11], s[2:3], s22, v12, 0
	v_add3_u32 v11, v11, v13, v3
	v_lshlrev_b64 v[10:11], 3, v[10:11]
	v_mov_b32_e32 v3, s25
	v_add_co_u32_e32 v10, vcc, s24, v10
	v_addc_co_u32_e32 v3, vcc, v3, v11, vcc
	v_lshlrev_b64 v[8:9], 3, v[8:9]
	v_add_co_u32_e32 v8, vcc, v10, v8
	v_addc_co_u32_e32 v9, vcc, v3, v9, vcc
	global_load_dwordx2 v[8:9], v[8:9], off
	s_waitcnt vmcnt(0)
	v_cmp_le_f64_e32 vcc, s[10:11], v[8:9]
	v_cmp_ge_f64_e64 s[2:3], s[12:13], v[8:9]
	s_and_b64 s[28:29], vcc, s[2:3]
	s_and_saveexec_b64 s[2:3], s[28:29]
	s_cbranch_execz .LBB77_2
; %bb.11:                               ;   in Loop: Header=BB77_3 Depth=1
	v_mul_lo_u32 v3, v1, s6
	v_mul_lo_u32 v12, v0, s7
	v_mad_u64_u32 v[10:11], s[28:29], v0, s6, 0
	v_add3_u32 v11, v11, v12, v3
	v_lshlrev_b64 v[10:11], 3, v[10:11]
	v_mov_b32_e32 v3, s17
	v_add_co_u32_e32 v10, vcc, s16, v10
	v_addc_co_u32_e32 v11, vcc, v3, v11, vcc
	global_load_dwordx2 v[10:11], v[10:11], off
	v_add_f64 v[8:9], v[8:9], -s[10:11]
	v_mul_f64 v[8:9], v[8:9], v[4:5]
	v_div_scale_f64 v[12:13], s[28:29], v[6:7], v[6:7], v[8:9]
	v_rcp_f64_e32 v[14:15], v[12:13]
	v_fma_f64 v[16:17], -v[12:13], v[14:15], 1.0
	v_fmac_f64_e32 v[14:15], v[14:15], v[16:17]
	v_fma_f64 v[16:17], -v[12:13], v[14:15], 1.0
	v_fmac_f64_e32 v[14:15], v[14:15], v[16:17]
	v_div_scale_f64 v[16:17], vcc, v[8:9], v[6:7], v[8:9]
	v_mul_f64 v[18:19], v[16:17], v[14:15]
	v_fma_f64 v[12:13], -v[12:13], v[18:19], v[16:17]
	s_nop 1
	v_div_fmas_f64 v[12:13], v[12:13], v[14:15], v[18:19]
	v_div_fixup_f64 v[8:9], v[12:13], v[6:7], v[8:9]
	v_cvt_i32_f64_e32 v8, v[8:9]
	v_ashrrev_i32_e32 v9, 31, v8
	v_cmp_eq_u64_e32 vcc, s[8:9], v[8:9]
	v_cndmask_b32_e64 v3, 0, 1, vcc
	v_sub_co_u32_e32 v3, vcc, v8, v3
	v_subbrev_co_u32_e32 v8, vcc, 0, v9, vcc
	v_mul_lo_u32 v12, v8, s20
	v_mul_lo_u32 v13, v3, s21
	v_mad_u64_u32 v[8:9], s[28:29], v3, s20, 0
	v_add3_u32 v9, v9, v13, v12
	v_lshlrev_b64 v[8:9], 3, v[8:9]
	v_mov_b32_e32 v3, s19
	v_add_co_u32_e32 v8, vcc, s18, v8
	v_addc_co_u32_e32 v9, vcc, v3, v9, vcc
	s_waitcnt vmcnt(0)
	global_atomic_add_f64 v[8:9], v[10:11], off
	s_branch .LBB77_2
.LBB77_12:
	s_endpgm
	.section	.rodata,"a",@progbits
	.p2align	6, 0x0
	.amdhsa_kernel _ZN2at4cuda17kernelHistogram1DIddlLi1ELi2ELin1ELNS0_23CUDAHistogramMemoryTypeE1EZNS0_21CUDA_tensor_histogramIddLb0EEEbNS_6TensorES4_S4_lNS_14AccumulateTypeIT0_Lb1EE4typeES8_NS0_13TensorArgTypeES9_S9_EUllE_EEvNS0_6detail10TensorInfoIT_T1_EESF_NSC_IKS6_SE_EElS8_S8_SE_T6_
		.amdhsa_group_segment_fixed_size 0
		.amdhsa_private_segment_fixed_size 0
		.amdhsa_kernarg_size 1952
		.amdhsa_user_sgpr_count 6
		.amdhsa_user_sgpr_private_segment_buffer 1
		.amdhsa_user_sgpr_dispatch_ptr 0
		.amdhsa_user_sgpr_queue_ptr 0
		.amdhsa_user_sgpr_kernarg_segment_ptr 1
		.amdhsa_user_sgpr_dispatch_id 0
		.amdhsa_user_sgpr_flat_scratch_init 0
		.amdhsa_user_sgpr_kernarg_preload_length 0
		.amdhsa_user_sgpr_kernarg_preload_offset 0
		.amdhsa_user_sgpr_private_segment_size 0
		.amdhsa_uses_dynamic_stack 0
		.amdhsa_system_sgpr_private_segment_wavefront_offset 0
		.amdhsa_system_sgpr_workgroup_id_x 1
		.amdhsa_system_sgpr_workgroup_id_y 0
		.amdhsa_system_sgpr_workgroup_id_z 0
		.amdhsa_system_sgpr_workgroup_info 0
		.amdhsa_system_vgpr_workitem_id 0
		.amdhsa_next_free_vgpr 22
		.amdhsa_next_free_sgpr 43
		.amdhsa_accum_offset 24
		.amdhsa_reserve_vcc 1
		.amdhsa_reserve_flat_scratch 0
		.amdhsa_float_round_mode_32 0
		.amdhsa_float_round_mode_16_64 0
		.amdhsa_float_denorm_mode_32 3
		.amdhsa_float_denorm_mode_16_64 3
		.amdhsa_dx10_clamp 1
		.amdhsa_ieee_mode 1
		.amdhsa_fp16_overflow 0
		.amdhsa_tg_split 0
		.amdhsa_exception_fp_ieee_invalid_op 0
		.amdhsa_exception_fp_denorm_src 0
		.amdhsa_exception_fp_ieee_div_zero 0
		.amdhsa_exception_fp_ieee_overflow 0
		.amdhsa_exception_fp_ieee_underflow 0
		.amdhsa_exception_fp_ieee_inexact 0
		.amdhsa_exception_int_div_zero 0
	.end_amdhsa_kernel
	.section	.text._ZN2at4cuda17kernelHistogram1DIddlLi1ELi2ELin1ELNS0_23CUDAHistogramMemoryTypeE1EZNS0_21CUDA_tensor_histogramIddLb0EEEbNS_6TensorES4_S4_lNS_14AccumulateTypeIT0_Lb1EE4typeES8_NS0_13TensorArgTypeES9_S9_EUllE_EEvNS0_6detail10TensorInfoIT_T1_EESF_NSC_IKS6_SE_EElS8_S8_SE_T6_,"axG",@progbits,_ZN2at4cuda17kernelHistogram1DIddlLi1ELi2ELin1ELNS0_23CUDAHistogramMemoryTypeE1EZNS0_21CUDA_tensor_histogramIddLb0EEEbNS_6TensorES4_S4_lNS_14AccumulateTypeIT0_Lb1EE4typeES8_NS0_13TensorArgTypeES9_S9_EUllE_EEvNS0_6detail10TensorInfoIT_T1_EESF_NSC_IKS6_SE_EElS8_S8_SE_T6_,comdat
.Lfunc_end77:
	.size	_ZN2at4cuda17kernelHistogram1DIddlLi1ELi2ELin1ELNS0_23CUDAHistogramMemoryTypeE1EZNS0_21CUDA_tensor_histogramIddLb0EEEbNS_6TensorES4_S4_lNS_14AccumulateTypeIT0_Lb1EE4typeES8_NS0_13TensorArgTypeES9_S9_EUllE_EEvNS0_6detail10TensorInfoIT_T1_EESF_NSC_IKS6_SE_EElS8_S8_SE_T6_, .Lfunc_end77-_ZN2at4cuda17kernelHistogram1DIddlLi1ELi2ELin1ELNS0_23CUDAHistogramMemoryTypeE1EZNS0_21CUDA_tensor_histogramIddLb0EEEbNS_6TensorES4_S4_lNS_14AccumulateTypeIT0_Lb1EE4typeES8_NS0_13TensorArgTypeES9_S9_EUllE_EEvNS0_6detail10TensorInfoIT_T1_EESF_NSC_IKS6_SE_EElS8_S8_SE_T6_
                                        ; -- End function
	.section	.AMDGPU.csdata,"",@progbits
; Kernel info:
; codeLenInByte = 1624
; NumSgprs: 47
; NumVgprs: 22
; NumAgprs: 0
; TotalNumVgprs: 22
; ScratchSize: 0
; MemoryBound: 0
; FloatMode: 240
; IeeeMode: 1
; LDSByteSize: 0 bytes/workgroup (compile time only)
; SGPRBlocks: 5
; VGPRBlocks: 2
; NumSGPRsForWavesPerEU: 47
; NumVGPRsForWavesPerEU: 22
; AccumOffset: 24
; Occupancy: 8
; WaveLimiterHint : 1
; COMPUTE_PGM_RSRC2:SCRATCH_EN: 0
; COMPUTE_PGM_RSRC2:USER_SGPR: 6
; COMPUTE_PGM_RSRC2:TRAP_HANDLER: 0
; COMPUTE_PGM_RSRC2:TGID_X_EN: 1
; COMPUTE_PGM_RSRC2:TGID_Y_EN: 0
; COMPUTE_PGM_RSRC2:TGID_Z_EN: 0
; COMPUTE_PGM_RSRC2:TIDIG_COMP_CNT: 0
; COMPUTE_PGM_RSRC3_GFX90A:ACCUM_OFFSET: 5
; COMPUTE_PGM_RSRC3_GFX90A:TG_SPLIT: 0
	.section	.text._ZN2at4cuda17kernelHistogram1DIddlLi1ELi2ELin1ELNS0_23CUDAHistogramMemoryTypeE0EZNS0_21CUDA_tensor_histogramIddLb0EEEbNS_6TensorES4_S4_lNS_14AccumulateTypeIT0_Lb1EE4typeES8_NS0_13TensorArgTypeES9_S9_EUllE0_EEvNS0_6detail10TensorInfoIT_T1_EESF_NSC_IKS6_SE_EElS8_S8_SE_T6_,"axG",@progbits,_ZN2at4cuda17kernelHistogram1DIddlLi1ELi2ELin1ELNS0_23CUDAHistogramMemoryTypeE0EZNS0_21CUDA_tensor_histogramIddLb0EEEbNS_6TensorES4_S4_lNS_14AccumulateTypeIT0_Lb1EE4typeES8_NS0_13TensorArgTypeES9_S9_EUllE0_EEvNS0_6detail10TensorInfoIT_T1_EESF_NSC_IKS6_SE_EElS8_S8_SE_T6_,comdat
	.protected	_ZN2at4cuda17kernelHistogram1DIddlLi1ELi2ELin1ELNS0_23CUDAHistogramMemoryTypeE0EZNS0_21CUDA_tensor_histogramIddLb0EEEbNS_6TensorES4_S4_lNS_14AccumulateTypeIT0_Lb1EE4typeES8_NS0_13TensorArgTypeES9_S9_EUllE0_EEvNS0_6detail10TensorInfoIT_T1_EESF_NSC_IKS6_SE_EElS8_S8_SE_T6_ ; -- Begin function _ZN2at4cuda17kernelHistogram1DIddlLi1ELi2ELin1ELNS0_23CUDAHistogramMemoryTypeE0EZNS0_21CUDA_tensor_histogramIddLb0EEEbNS_6TensorES4_S4_lNS_14AccumulateTypeIT0_Lb1EE4typeES8_NS0_13TensorArgTypeES9_S9_EUllE0_EEvNS0_6detail10TensorInfoIT_T1_EESF_NSC_IKS6_SE_EElS8_S8_SE_T6_
	.globl	_ZN2at4cuda17kernelHistogram1DIddlLi1ELi2ELin1ELNS0_23CUDAHistogramMemoryTypeE0EZNS0_21CUDA_tensor_histogramIddLb0EEEbNS_6TensorES4_S4_lNS_14AccumulateTypeIT0_Lb1EE4typeES8_NS0_13TensorArgTypeES9_S9_EUllE0_EEvNS0_6detail10TensorInfoIT_T1_EESF_NSC_IKS6_SE_EElS8_S8_SE_T6_
	.p2align	8
	.type	_ZN2at4cuda17kernelHistogram1DIddlLi1ELi2ELin1ELNS0_23CUDAHistogramMemoryTypeE0EZNS0_21CUDA_tensor_histogramIddLb0EEEbNS_6TensorES4_S4_lNS_14AccumulateTypeIT0_Lb1EE4typeES8_NS0_13TensorArgTypeES9_S9_EUllE0_EEvNS0_6detail10TensorInfoIT_T1_EESF_NSC_IKS6_SE_EElS8_S8_SE_T6_,@function
_ZN2at4cuda17kernelHistogram1DIddlLi1ELi2ELin1ELNS0_23CUDAHistogramMemoryTypeE0EZNS0_21CUDA_tensor_histogramIddLb0EEEbNS_6TensorES4_S4_lNS_14AccumulateTypeIT0_Lb1EE4typeES8_NS0_13TensorArgTypeES9_S9_EUllE0_EEvNS0_6detail10TensorInfoIT_T1_EESF_NSC_IKS6_SE_EElS8_S8_SE_T6_: ; @_ZN2at4cuda17kernelHistogram1DIddlLi1ELi2ELin1ELNS0_23CUDAHistogramMemoryTypeE0EZNS0_21CUDA_tensor_histogramIddLb0EEEbNS_6TensorES4_S4_lNS_14AccumulateTypeIT0_Lb1EE4typeES8_NS0_13TensorArgTypeES9_S9_EUllE0_EEvNS0_6detail10TensorInfoIT_T1_EESF_NSC_IKS6_SE_EElS8_S8_SE_T6_
; %bb.0:
	s_load_dwordx4 s[16:19], s[4:5], 0x0
	v_mov_b32_e32 v1, 0
	s_add_u32 s2, s4, 0x508
	s_addc_u32 s3, s5, 0
                                        ; implicit-def: $sgpr7
                                        ; implicit-def: $sgpr10
	s_waitcnt lgkmcnt(0)
	v_cmp_gt_i64_e64 s[0:1], s[18:19], v[0:1]
	v_cmp_le_i64_e32 vcc, s[18:19], v[0:1]
	s_and_saveexec_b64 s[8:9], vcc
	s_xor_b64 s[8:9], exec, s[8:9]
	s_cbranch_execz .LBB78_2
; %bb.1:
	s_load_dword s7, s[2:3], 0xc
	s_waitcnt lgkmcnt(0)
	s_and_b32 s10, s7, 0xffff
.LBB78_2:
	s_or_saveexec_b64 s[8:9], s[8:9]
	s_load_dwordx2 s[20:21], s[4:5], 0xd0
	v_mov_b32_e32 v19, s7
	v_mov_b32_e32 v18, s10
	v_lshl_add_u32 v11, v0, 3, 0
	s_xor_b64 exec, exec, s[8:9]
	s_cbranch_execz .LBB78_6
; %bb.3:
	s_load_dword s7, s[2:3], 0xc
	s_mov_b32 s14, 0
	v_mov_b32_e32 v2, 0
	v_lshl_add_u32 v6, v0, 3, 0
	s_mov_b64 s[10:11], 0
	s_waitcnt lgkmcnt(0)
	s_and_b32 s12, s7, 0xffff
	s_lshl_b32 s13, s12, 3
	v_mov_b32_e32 v3, v2
	v_mov_b32_e32 v7, s14
	v_pk_mov_b32 v[4:5], v[0:1], v[0:1] op_sel:[0,1]
.LBB78_4:                               ; =>This Inner Loop Header: Depth=1
	v_add_co_u32_e32 v4, vcc, s12, v4
	v_addc_co_u32_e32 v5, vcc, v5, v7, vcc
	v_cmp_le_i64_e32 vcc, s[18:19], v[4:5]
	ds_write_b64 v6, v[2:3]
	s_or_b64 s[10:11], vcc, s[10:11]
	v_add_u32_e32 v6, s13, v6
	s_andn2_b64 exec, exec, s[10:11]
	s_cbranch_execnz .LBB78_4
; %bb.5:
	s_or_b64 exec, exec, s[10:11]
	v_mov_b32_e32 v19, s7
	v_mov_b32_e32 v18, s12
.LBB78_6:
	s_or_b64 exec, exec, s[8:9]
	s_load_dwordx8 s[8:15], s[4:5], 0x4e0
	v_mad_u64_u32 v[2:3], s[6:7], s6, v18, v[0:1]
	v_mov_b32_e32 v4, 0
	v_mov_b32_e32 v3, v4
	s_waitcnt lgkmcnt(0)
	v_cmp_gt_i64_e32 vcc, s[14:15], v[2:3]
	s_barrier
	s_and_saveexec_b64 s[6:7], vcc
	s_cbranch_execz .LBB78_18
; %bb.7:
	s_load_dword s26, s[4:5], 0x4d8
	s_load_dwordx2 s[22:23], s[4:5], 0x410
	s_load_dwordx2 s[24:25], s[4:5], 0x340
	s_add_u32 s27, s4, 0x340
	s_load_dword s2, s[2:3], 0x0
	s_addc_u32 s28, s5, 0
	s_waitcnt lgkmcnt(0)
	s_cmp_gt_i32 s26, 1
	s_mov_b32 s3, 0
	s_cselect_b64 s[4:5], -1, 0
	v_mul_lo_u32 v10, s2, v18
	s_add_i32 s2, s26, -1
	s_add_i32 s33, s26, 1
	s_lshl_b64 s[2:3], s[2:3], 3
	v_cvt_f64_i32_e32 v[6:7], s9
	s_add_u32 s2, s2, s27
	v_ldexp_f64 v[6:7], v[6:7], 32
	v_cvt_f64_u32_e32 v[8:9], s8
	s_addc_u32 s3, s3, s28
	v_add_f64 v[6:7], v[6:7], v[8:9]
	v_pk_mov_b32 v[8:9], s[10:11], s[10:11] op_sel:[0,1]
	s_add_u32 s26, s2, 8
	v_cndmask_b32_e64 v5, 0, 1, s[4:5]
	v_add_f64 v[8:9], s[12:13], -v[8:9]
	s_addc_u32 s27, s3, 0
	s_mov_b64 s[28:29], 0
	v_cmp_ne_u32_e64 s[2:3], 1, v5
	s_mov_b64 s[30:31], src_shared_base
	s_branch .LBB78_9
.LBB78_8:                               ;   in Loop: Header=BB78_9 Depth=1
	s_or_b64 exec, exec, s[4:5]
	v_add_co_u32_e32 v2, vcc, v2, v10
	v_addc_co_u32_e32 v3, vcc, 0, v3, vcc
	v_cmp_le_i64_e32 vcc, s[14:15], v[2:3]
	s_or_b64 s[28:29], vcc, s[28:29]
	s_andn2_b64 exec, exec, s[28:29]
	s_cbranch_execz .LBB78_18
.LBB78_9:                               ; =>This Loop Header: Depth=1
                                        ;     Child Loop BB78_10 Depth 2
	s_and_b64 vcc, exec, s[2:3]
	v_pk_mov_b32 v[12:13], 0, 0
	s_mov_b64 s[34:35], s[26:27]
	s_mov_b32 s30, s33
	v_pk_mov_b32 v[14:15], v[2:3], v[2:3] op_sel:[0,1]
	v_pk_mov_b32 v[16:17], v[2:3], v[2:3] op_sel:[0,1]
	s_cbranch_vccnz .LBB78_16
.LBB78_10:                              ;   Parent Loop BB78_9 Depth=1
                                        ; =>  This Inner Loop Header: Depth=2
	s_load_dwordx2 s[36:37], s[34:35], 0x0
                                        ; implicit-def: $vgpr16_vgpr17
	s_waitcnt lgkmcnt(0)
	v_or_b32_e32 v5, s37, v15
	v_cmp_ne_u64_e32 vcc, 0, v[4:5]
	s_and_saveexec_b64 s[4:5], vcc
	s_xor_b64 s[38:39], exec, s[4:5]
	s_cbranch_execz .LBB78_12
; %bb.11:                               ;   in Loop: Header=BB78_10 Depth=2
	s_ashr_i32 s40, s37, 31
	s_add_u32 s4, s36, s40
	s_mov_b32 s41, s40
	s_addc_u32 s5, s37, s40
	s_xor_b64 s[42:43], s[4:5], s[40:41]
	v_cvt_f32_u32_e32 v5, s42
	v_cvt_f32_u32_e32 v16, s43
	s_sub_u32 s4, 0, s42
	s_subb_u32 s5, 0, s43
	v_mac_f32_e32 v5, 0x4f800000, v16
	v_rcp_f32_e32 v5, v5
	v_mul_f32_e32 v5, 0x5f7ffffc, v5
	v_mul_f32_e32 v16, 0x2f800000, v5
	v_trunc_f32_e32 v16, v16
	v_mac_f32_e32 v5, 0xcf800000, v16
	v_cvt_u32_f32_e32 v16, v16
	v_cvt_u32_f32_e32 v5, v5
	v_mul_lo_u32 v17, s4, v16
	v_mul_hi_u32 v21, s4, v5
	v_mul_lo_u32 v20, s5, v5
	v_add_u32_e32 v17, v21, v17
	v_mul_lo_u32 v22, s4, v5
	v_add_u32_e32 v17, v17, v20
	v_mul_lo_u32 v21, v5, v17
	v_mul_hi_u32 v23, v5, v22
	v_mul_hi_u32 v20, v5, v17
	v_add_co_u32_e32 v21, vcc, v23, v21
	v_addc_co_u32_e32 v20, vcc, 0, v20, vcc
	v_mul_hi_u32 v24, v16, v22
	v_mul_lo_u32 v22, v16, v22
	v_add_co_u32_e32 v21, vcc, v21, v22
	v_mul_hi_u32 v23, v16, v17
	v_addc_co_u32_e32 v20, vcc, v20, v24, vcc
	v_addc_co_u32_e32 v21, vcc, 0, v23, vcc
	v_mul_lo_u32 v17, v16, v17
	v_add_co_u32_e32 v17, vcc, v20, v17
	v_addc_co_u32_e32 v20, vcc, 0, v21, vcc
	v_add_co_u32_e32 v5, vcc, v5, v17
	v_addc_co_u32_e32 v16, vcc, v16, v20, vcc
	v_mul_lo_u32 v17, s4, v16
	v_mul_hi_u32 v20, s4, v5
	v_add_u32_e32 v17, v20, v17
	v_mul_lo_u32 v20, s5, v5
	v_add_u32_e32 v17, v17, v20
	v_mul_lo_u32 v21, s4, v5
	v_mul_hi_u32 v22, v16, v21
	v_mul_lo_u32 v23, v16, v21
	v_mul_lo_u32 v25, v5, v17
	v_mul_hi_u32 v21, v5, v21
	v_mul_hi_u32 v24, v5, v17
	v_add_co_u32_e32 v21, vcc, v21, v25
	v_addc_co_u32_e32 v24, vcc, 0, v24, vcc
	v_add_co_u32_e32 v21, vcc, v21, v23
	v_mul_hi_u32 v20, v16, v17
	v_addc_co_u32_e32 v21, vcc, v24, v22, vcc
	v_addc_co_u32_e32 v20, vcc, 0, v20, vcc
	v_mul_lo_u32 v17, v16, v17
	v_add_co_u32_e32 v17, vcc, v21, v17
	v_addc_co_u32_e32 v20, vcc, 0, v20, vcc
	v_add_co_u32_e32 v5, vcc, v5, v17
	v_addc_co_u32_e32 v20, vcc, v16, v20, vcc
	v_ashrrev_i32_e32 v22, 31, v15
	v_add_co_u32_e32 v16, vcc, v14, v22
	v_addc_co_u32_e32 v17, vcc, v15, v22, vcc
	v_xor_b32_e32 v24, v16, v22
	v_xor_b32_e32 v23, v17, v22
	v_mad_u64_u32 v[16:17], s[4:5], v24, v20, 0
	v_mul_hi_u32 v21, v24, v5
	v_add_co_u32_e32 v25, vcc, v21, v16
	v_addc_co_u32_e32 v26, vcc, 0, v17, vcc
	v_mad_u64_u32 v[16:17], s[4:5], v23, v20, 0
	v_mad_u64_u32 v[20:21], s[4:5], v23, v5, 0
	v_add_co_u32_e32 v5, vcc, v25, v20
	v_addc_co_u32_e32 v5, vcc, v26, v21, vcc
	v_addc_co_u32_e32 v17, vcc, 0, v17, vcc
	v_add_co_u32_e32 v5, vcc, v5, v16
	v_addc_co_u32_e32 v20, vcc, 0, v17, vcc
	v_mul_lo_u32 v21, s43, v5
	v_mul_lo_u32 v25, s42, v20
	v_mad_u64_u32 v[16:17], s[4:5], s42, v5, 0
	v_add3_u32 v17, v17, v25, v21
	v_sub_u32_e32 v21, v23, v17
	v_mov_b32_e32 v25, s43
	v_sub_co_u32_e32 v16, vcc, v24, v16
	v_subb_co_u32_e64 v21, s[4:5], v21, v25, vcc
	v_subrev_co_u32_e64 v24, s[4:5], s42, v16
	v_subbrev_co_u32_e64 v21, s[4:5], 0, v21, s[4:5]
	v_cmp_le_u32_e64 s[4:5], s43, v21
	v_cndmask_b32_e64 v25, 0, -1, s[4:5]
	v_cmp_le_u32_e64 s[4:5], s42, v24
	v_cndmask_b32_e64 v24, 0, -1, s[4:5]
	v_cmp_eq_u32_e64 s[4:5], s43, v21
	v_cndmask_b32_e64 v21, v25, v24, s[4:5]
	v_add_co_u32_e64 v24, s[4:5], 2, v5
	v_subb_co_u32_e32 v17, vcc, v23, v17, vcc
	v_addc_co_u32_e64 v25, s[4:5], 0, v20, s[4:5]
	v_cmp_le_u32_e32 vcc, s43, v17
	v_add_co_u32_e64 v26, s[4:5], 1, v5
	v_cndmask_b32_e64 v23, 0, -1, vcc
	v_cmp_le_u32_e32 vcc, s42, v16
	v_addc_co_u32_e64 v27, s[4:5], 0, v20, s[4:5]
	v_cndmask_b32_e64 v16, 0, -1, vcc
	v_cmp_eq_u32_e32 vcc, s43, v17
	v_cmp_ne_u32_e64 s[4:5], 0, v21
	v_cndmask_b32_e32 v16, v23, v16, vcc
	v_cmp_ne_u32_e32 vcc, 0, v16
	v_cndmask_b32_e64 v17, v26, v24, s[4:5]
	v_cndmask_b32_e64 v21, v27, v25, s[4:5]
	v_cndmask_b32_e32 v5, v5, v17, vcc
	v_xor_b32_e32 v17, s40, v22
	v_cndmask_b32_e32 v16, v20, v21, vcc
	v_xor_b32_e32 v5, v5, v17
	v_xor_b32_e32 v20, v16, v17
	v_sub_co_u32_e32 v16, vcc, v5, v17
	v_subb_co_u32_e32 v17, vcc, v20, v17, vcc
.LBB78_12:                              ;   in Loop: Header=BB78_10 Depth=2
	s_andn2_saveexec_b64 s[4:5], s[38:39]
	s_cbranch_execz .LBB78_14
; %bb.13:                               ;   in Loop: Header=BB78_10 Depth=2
	v_cvt_f32_u32_e32 v5, s36
	s_sub_i32 s38, 0, s36
	v_rcp_iflag_f32_e32 v5, v5
	v_mul_f32_e32 v5, 0x4f7ffffe, v5
	v_cvt_u32_f32_e32 v5, v5
	v_mul_lo_u32 v16, s38, v5
	v_mul_hi_u32 v16, v5, v16
	v_add_u32_e32 v5, v5, v16
	v_mul_hi_u32 v5, v14, v5
	v_mul_lo_u32 v16, v5, s36
	v_sub_u32_e32 v16, v14, v16
	v_add_u32_e32 v17, 1, v5
	v_subrev_u32_e32 v20, s36, v16
	v_cmp_le_u32_e32 vcc, s36, v16
	v_cndmask_b32_e32 v16, v16, v20, vcc
	v_cndmask_b32_e32 v5, v5, v17, vcc
	v_add_u32_e32 v17, 1, v5
	v_cmp_le_u32_e32 vcc, s36, v16
	v_cndmask_b32_e32 v16, v5, v17, vcc
	v_mov_b32_e32 v17, v4
.LBB78_14:                              ;   in Loop: Header=BB78_10 Depth=2
	s_or_b64 exec, exec, s[4:5]
	v_mad_u64_u32 v[20:21], s[4:5], v16, s36, 0
	s_load_dwordx2 s[4:5], s[34:35], 0xc8
	v_mul_lo_u32 v5, v17, s36
	v_mul_lo_u32 v22, v16, s37
	v_add3_u32 v5, v21, v22, v5
	v_sub_co_u32_e32 v14, vcc, v14, v20
	s_add_i32 s30, s30, -1
	v_subb_co_u32_e32 v5, vcc, v15, v5, vcc
	s_add_u32 s34, s34, -8
	s_waitcnt lgkmcnt(0)
	v_mul_lo_u32 v5, s4, v5
	v_mul_lo_u32 v15, s5, v14
	v_mad_u64_u32 v[12:13], s[4:5], s4, v14, v[12:13]
	s_addc_u32 s35, s35, -1
	s_cmp_gt_u32 s30, 2
	v_add3_u32 v13, v15, v13, v5
	s_cbranch_scc0 .LBB78_16
; %bb.15:                               ;   in Loop: Header=BB78_10 Depth=2
	v_pk_mov_b32 v[14:15], v[16:17], v[16:17] op_sel:[0,1]
	s_branch .LBB78_10
.LBB78_16:                              ;   in Loop: Header=BB78_9 Depth=1
	v_mul_lo_u32 v5, s23, v16
	v_mul_lo_u32 v17, s22, v17
	v_mad_u64_u32 v[14:15], s[4:5], s22, v16, 0
	v_add3_u32 v15, v15, v17, v5
	v_lshlrev_b64 v[14:15], 3, v[14:15]
	v_mov_b32_e32 v5, s25
	v_add_co_u32_e32 v14, vcc, s24, v14
	v_addc_co_u32_e32 v5, vcc, v5, v15, vcc
	v_lshlrev_b64 v[12:13], 3, v[12:13]
	v_add_co_u32_e32 v12, vcc, v14, v12
	v_addc_co_u32_e32 v13, vcc, v5, v13, vcc
	global_load_dwordx2 v[12:13], v[12:13], off
	s_waitcnt vmcnt(0)
	v_cmp_le_f64_e32 vcc, s[10:11], v[12:13]
	v_cmp_ge_f64_e64 s[4:5], s[12:13], v[12:13]
	s_and_b64 s[34:35], vcc, s[4:5]
	s_and_saveexec_b64 s[4:5], s[34:35]
	s_cbranch_execz .LBB78_8
; %bb.17:                               ;   in Loop: Header=BB78_9 Depth=1
	v_add_f64 v[12:13], v[12:13], -s[10:11]
	v_mul_f64 v[12:13], v[12:13], v[6:7]
	v_div_scale_f64 v[14:15], s[34:35], v[8:9], v[8:9], v[12:13]
	v_rcp_f64_e32 v[16:17], v[14:15]
	v_mov_b32_e32 v20, 0
	v_mov_b32_e32 v21, 0x3ff00000
	v_fma_f64 v[22:23], -v[14:15], v[16:17], 1.0
	v_fmac_f64_e32 v[16:17], v[16:17], v[22:23]
	v_fma_f64 v[22:23], -v[14:15], v[16:17], 1.0
	v_fmac_f64_e32 v[16:17], v[16:17], v[22:23]
	v_div_scale_f64 v[22:23], vcc, v[12:13], v[8:9], v[12:13]
	v_mul_f64 v[24:25], v[22:23], v[16:17]
	v_fma_f64 v[14:15], -v[14:15], v[24:25], v[22:23]
	s_nop 1
	v_div_fmas_f64 v[14:15], v[14:15], v[16:17], v[24:25]
	v_div_fixup_f64 v[12:13], v[14:15], v[8:9], v[12:13]
	v_cvt_i32_f64_e32 v12, v[12:13]
	v_ashrrev_i32_e32 v13, 31, v12
	v_cmp_eq_u64_e32 vcc, s[8:9], v[12:13]
	v_cndmask_b32_e64 v5, 0, -1, vcc
	v_lshlrev_b32_e32 v5, 3, v5
	v_lshlrev_b32_e32 v12, 3, v12
	v_add3_u32 v12, 0, v5, v12
	v_mov_b32_e32 v13, s31
	flat_atomic_add_f64 v[12:13], v[20:21]
	s_branch .LBB78_8
.LBB78_18:
	s_or_b64 exec, exec, s[6:7]
; %bb.19:
	s_waitcnt lgkmcnt(0)
	s_barrier
	s_and_saveexec_b64 s[2:3], s[0:1]
	s_cbranch_execz .LBB78_22
; %bb.20:
	v_mad_u64_u32 v[4:5], s[0:1], s20, v0, 0
	v_mov_b32_e32 v6, v5
	v_and_b32_e32 v2, 0xffff, v19
	v_mad_u64_u32 v[6:7], s[0:1], s21, v0, v[6:7]
	v_mov_b32_e32 v5, v6
	v_mad_u64_u32 v[6:7], s[0:1], s20, v2, 0
	v_mov_b32_e32 v8, v7
	v_lshlrev_b64 v[4:5], 3, v[4:5]
	v_mad_u64_u32 v[8:9], s[0:1], s21, v2, v[8:9]
	v_mov_b32_e32 v3, s17
	v_add_co_u32_e32 v4, vcc, s16, v4
	v_mov_b32_e32 v7, v8
	v_addc_co_u32_e32 v5, vcc, v3, v5, vcc
	v_lshlrev_b64 v[6:7], 3, v[6:7]
	v_lshlrev_b32_e32 v3, 3, v18
	s_mov_b64 s[0:1], 0
.LBB78_21:                              ; =>This Inner Loop Header: Depth=1
	ds_read_b64 v[8:9], v11
	v_add_co_u32_e32 v0, vcc, v0, v2
	v_addc_co_u32_e32 v1, vcc, 0, v1, vcc
	s_waitcnt lgkmcnt(0)
	global_atomic_add_f64 v[4:5], v[8:9], off
	v_cmp_le_i64_e32 vcc, s[18:19], v[0:1]
	s_or_b64 s[0:1], vcc, s[0:1]
	v_add_co_u32_e32 v4, vcc, v4, v6
	v_add_u32_e32 v11, v11, v3
	v_addc_co_u32_e32 v5, vcc, v5, v7, vcc
	s_andn2_b64 exec, exec, s[0:1]
	s_cbranch_execnz .LBB78_21
.LBB78_22:
	s_endpgm
	.section	.rodata,"a",@progbits
	.p2align	6, 0x0
	.amdhsa_kernel _ZN2at4cuda17kernelHistogram1DIddlLi1ELi2ELin1ELNS0_23CUDAHistogramMemoryTypeE0EZNS0_21CUDA_tensor_histogramIddLb0EEEbNS_6TensorES4_S4_lNS_14AccumulateTypeIT0_Lb1EE4typeES8_NS0_13TensorArgTypeES9_S9_EUllE0_EEvNS0_6detail10TensorInfoIT_T1_EESF_NSC_IKS6_SE_EElS8_S8_SE_T6_
		.amdhsa_group_segment_fixed_size 0
		.amdhsa_private_segment_fixed_size 0
		.amdhsa_kernarg_size 1544
		.amdhsa_user_sgpr_count 6
		.amdhsa_user_sgpr_private_segment_buffer 1
		.amdhsa_user_sgpr_dispatch_ptr 0
		.amdhsa_user_sgpr_queue_ptr 0
		.amdhsa_user_sgpr_kernarg_segment_ptr 1
		.amdhsa_user_sgpr_dispatch_id 0
		.amdhsa_user_sgpr_flat_scratch_init 0
		.amdhsa_user_sgpr_kernarg_preload_length 0
		.amdhsa_user_sgpr_kernarg_preload_offset 0
		.amdhsa_user_sgpr_private_segment_size 0
		.amdhsa_uses_dynamic_stack 0
		.amdhsa_system_sgpr_private_segment_wavefront_offset 0
		.amdhsa_system_sgpr_workgroup_id_x 1
		.amdhsa_system_sgpr_workgroup_id_y 0
		.amdhsa_system_sgpr_workgroup_id_z 0
		.amdhsa_system_sgpr_workgroup_info 0
		.amdhsa_system_vgpr_workitem_id 0
		.amdhsa_next_free_vgpr 28
		.amdhsa_next_free_sgpr 44
		.amdhsa_accum_offset 28
		.amdhsa_reserve_vcc 1
		.amdhsa_reserve_flat_scratch 0
		.amdhsa_float_round_mode_32 0
		.amdhsa_float_round_mode_16_64 0
		.amdhsa_float_denorm_mode_32 3
		.amdhsa_float_denorm_mode_16_64 3
		.amdhsa_dx10_clamp 1
		.amdhsa_ieee_mode 1
		.amdhsa_fp16_overflow 0
		.amdhsa_tg_split 0
		.amdhsa_exception_fp_ieee_invalid_op 0
		.amdhsa_exception_fp_denorm_src 0
		.amdhsa_exception_fp_ieee_div_zero 0
		.amdhsa_exception_fp_ieee_overflow 0
		.amdhsa_exception_fp_ieee_underflow 0
		.amdhsa_exception_fp_ieee_inexact 0
		.amdhsa_exception_int_div_zero 0
	.end_amdhsa_kernel
	.section	.text._ZN2at4cuda17kernelHistogram1DIddlLi1ELi2ELin1ELNS0_23CUDAHistogramMemoryTypeE0EZNS0_21CUDA_tensor_histogramIddLb0EEEbNS_6TensorES4_S4_lNS_14AccumulateTypeIT0_Lb1EE4typeES8_NS0_13TensorArgTypeES9_S9_EUllE0_EEvNS0_6detail10TensorInfoIT_T1_EESF_NSC_IKS6_SE_EElS8_S8_SE_T6_,"axG",@progbits,_ZN2at4cuda17kernelHistogram1DIddlLi1ELi2ELin1ELNS0_23CUDAHistogramMemoryTypeE0EZNS0_21CUDA_tensor_histogramIddLb0EEEbNS_6TensorES4_S4_lNS_14AccumulateTypeIT0_Lb1EE4typeES8_NS0_13TensorArgTypeES9_S9_EUllE0_EEvNS0_6detail10TensorInfoIT_T1_EESF_NSC_IKS6_SE_EElS8_S8_SE_T6_,comdat
.Lfunc_end78:
	.size	_ZN2at4cuda17kernelHistogram1DIddlLi1ELi2ELin1ELNS0_23CUDAHistogramMemoryTypeE0EZNS0_21CUDA_tensor_histogramIddLb0EEEbNS_6TensorES4_S4_lNS_14AccumulateTypeIT0_Lb1EE4typeES8_NS0_13TensorArgTypeES9_S9_EUllE0_EEvNS0_6detail10TensorInfoIT_T1_EESF_NSC_IKS6_SE_EElS8_S8_SE_T6_, .Lfunc_end78-_ZN2at4cuda17kernelHistogram1DIddlLi1ELi2ELin1ELNS0_23CUDAHistogramMemoryTypeE0EZNS0_21CUDA_tensor_histogramIddLb0EEEbNS_6TensorES4_S4_lNS_14AccumulateTypeIT0_Lb1EE4typeES8_NS0_13TensorArgTypeES9_S9_EUllE0_EEvNS0_6detail10TensorInfoIT_T1_EESF_NSC_IKS6_SE_EElS8_S8_SE_T6_
                                        ; -- End function
	.section	.AMDGPU.csdata,"",@progbits
; Kernel info:
; codeLenInByte = 1860
; NumSgprs: 48
; NumVgprs: 28
; NumAgprs: 0
; TotalNumVgprs: 28
; ScratchSize: 0
; MemoryBound: 0
; FloatMode: 240
; IeeeMode: 1
; LDSByteSize: 0 bytes/workgroup (compile time only)
; SGPRBlocks: 5
; VGPRBlocks: 3
; NumSGPRsForWavesPerEU: 48
; NumVGPRsForWavesPerEU: 28
; AccumOffset: 28
; Occupancy: 8
; WaveLimiterHint : 1
; COMPUTE_PGM_RSRC2:SCRATCH_EN: 0
; COMPUTE_PGM_RSRC2:USER_SGPR: 6
; COMPUTE_PGM_RSRC2:TRAP_HANDLER: 0
; COMPUTE_PGM_RSRC2:TGID_X_EN: 1
; COMPUTE_PGM_RSRC2:TGID_Y_EN: 0
; COMPUTE_PGM_RSRC2:TGID_Z_EN: 0
; COMPUTE_PGM_RSRC2:TIDIG_COMP_CNT: 0
; COMPUTE_PGM_RSRC3_GFX90A:ACCUM_OFFSET: 6
; COMPUTE_PGM_RSRC3_GFX90A:TG_SPLIT: 0
	.section	.text._ZN2at4cuda17kernelHistogram1DIddlLi1ELi2ELin1ELNS0_23CUDAHistogramMemoryTypeE1EZNS0_21CUDA_tensor_histogramIddLb0EEEbNS_6TensorES4_S4_lNS_14AccumulateTypeIT0_Lb1EE4typeES8_NS0_13TensorArgTypeES9_S9_EUllE0_EEvNS0_6detail10TensorInfoIT_T1_EESF_NSC_IKS6_SE_EElS8_S8_SE_T6_,"axG",@progbits,_ZN2at4cuda17kernelHistogram1DIddlLi1ELi2ELin1ELNS0_23CUDAHistogramMemoryTypeE1EZNS0_21CUDA_tensor_histogramIddLb0EEEbNS_6TensorES4_S4_lNS_14AccumulateTypeIT0_Lb1EE4typeES8_NS0_13TensorArgTypeES9_S9_EUllE0_EEvNS0_6detail10TensorInfoIT_T1_EESF_NSC_IKS6_SE_EElS8_S8_SE_T6_,comdat
	.protected	_ZN2at4cuda17kernelHistogram1DIddlLi1ELi2ELin1ELNS0_23CUDAHistogramMemoryTypeE1EZNS0_21CUDA_tensor_histogramIddLb0EEEbNS_6TensorES4_S4_lNS_14AccumulateTypeIT0_Lb1EE4typeES8_NS0_13TensorArgTypeES9_S9_EUllE0_EEvNS0_6detail10TensorInfoIT_T1_EESF_NSC_IKS6_SE_EElS8_S8_SE_T6_ ; -- Begin function _ZN2at4cuda17kernelHistogram1DIddlLi1ELi2ELin1ELNS0_23CUDAHistogramMemoryTypeE1EZNS0_21CUDA_tensor_histogramIddLb0EEEbNS_6TensorES4_S4_lNS_14AccumulateTypeIT0_Lb1EE4typeES8_NS0_13TensorArgTypeES9_S9_EUllE0_EEvNS0_6detail10TensorInfoIT_T1_EESF_NSC_IKS6_SE_EElS8_S8_SE_T6_
	.globl	_ZN2at4cuda17kernelHistogram1DIddlLi1ELi2ELin1ELNS0_23CUDAHistogramMemoryTypeE1EZNS0_21CUDA_tensor_histogramIddLb0EEEbNS_6TensorES4_S4_lNS_14AccumulateTypeIT0_Lb1EE4typeES8_NS0_13TensorArgTypeES9_S9_EUllE0_EEvNS0_6detail10TensorInfoIT_T1_EESF_NSC_IKS6_SE_EElS8_S8_SE_T6_
	.p2align	8
	.type	_ZN2at4cuda17kernelHistogram1DIddlLi1ELi2ELin1ELNS0_23CUDAHistogramMemoryTypeE1EZNS0_21CUDA_tensor_histogramIddLb0EEEbNS_6TensorES4_S4_lNS_14AccumulateTypeIT0_Lb1EE4typeES8_NS0_13TensorArgTypeES9_S9_EUllE0_EEvNS0_6detail10TensorInfoIT_T1_EESF_NSC_IKS6_SE_EElS8_S8_SE_T6_,@function
_ZN2at4cuda17kernelHistogram1DIddlLi1ELi2ELin1ELNS0_23CUDAHistogramMemoryTypeE1EZNS0_21CUDA_tensor_histogramIddLb0EEEbNS_6TensorES4_S4_lNS_14AccumulateTypeIT0_Lb1EE4typeES8_NS0_13TensorArgTypeES9_S9_EUllE0_EEvNS0_6detail10TensorInfoIT_T1_EESF_NSC_IKS6_SE_EElS8_S8_SE_T6_: ; @_ZN2at4cuda17kernelHistogram1DIddlLi1ELi2ELin1ELNS0_23CUDAHistogramMemoryTypeE1EZNS0_21CUDA_tensor_histogramIddLb0EEEbNS_6TensorES4_S4_lNS_14AccumulateTypeIT0_Lb1EE4typeES8_NS0_13TensorArgTypeES9_S9_EUllE0_EEvNS0_6detail10TensorInfoIT_T1_EESF_NSC_IKS6_SE_EElS8_S8_SE_T6_
; %bb.0:
	s_load_dword s2, s[4:5], 0x514
	s_load_dwordx8 s[8:15], s[4:5], 0x4e0
	s_add_u32 s0, s4, 0x508
	s_addc_u32 s1, s5, 0
	v_mov_b32_e32 v2, 0
	s_waitcnt lgkmcnt(0)
	s_and_b32 s2, s2, 0xffff
	s_mul_i32 s6, s6, s2
	v_add_u32_e32 v0, s6, v0
	v_mov_b32_e32 v1, v2
	v_cmp_gt_i64_e32 vcc, s[14:15], v[0:1]
	s_and_saveexec_b64 s[6:7], vcc
	s_cbranch_execz .LBB79_12
; %bb.1:
	s_load_dword s3, s[4:5], 0x4d8
	s_load_dwordx2 s[6:7], s[4:5], 0x0
	s_load_dwordx2 s[16:17], s[4:5], 0xd0
	s_load_dword s24, s[0:1], 0x0
	s_add_u32 s22, s4, 0x340
	s_addc_u32 s23, s5, 0
	s_mov_b32 s36, 0
	s_waitcnt lgkmcnt(0)
	s_cmp_gt_i32 s3, 1
	s_mul_i32 s33, s24, s2
	s_cselect_b64 s[0:1], -1, 0
	s_add_i32 s37, s3, 1
	s_add_i32 s2, s3, -1
	s_mov_b32 s3, s36
	s_load_dwordx2 s[18:19], s[4:5], 0x410
	s_load_dwordx2 s[20:21], s[4:5], 0x340
	s_lshl_b64 s[2:3], s[2:3], 3
	v_cvt_f64_i32_e32 v[4:5], s9
	s_add_u32 s2, s2, s22
	v_ldexp_f64 v[4:5], v[4:5], 32
	v_cvt_f64_u32_e32 v[6:7], s8
	s_addc_u32 s3, s3, s23
	v_add_f64 v[4:5], v[4:5], v[6:7]
	v_pk_mov_b32 v[6:7], s[10:11], s[10:11] op_sel:[0,1]
	s_add_u32 s4, s2, 8
	v_cndmask_b32_e64 v3, 0, 1, s[0:1]
	v_add_f64 v[6:7], s[12:13], -v[6:7]
	s_addc_u32 s5, s3, 0
	s_mov_b64 s[22:23], 0
	v_cmp_ne_u32_e64 s[0:1], 1, v3
	s_branch .LBB79_3
.LBB79_2:                               ;   in Loop: Header=BB79_3 Depth=1
	s_or_b64 exec, exec, s[2:3]
	v_mov_b32_e32 v3, s36
	v_add_co_u32_e32 v0, vcc, s33, v0
	v_addc_co_u32_e32 v1, vcc, v1, v3, vcc
	v_cmp_le_i64_e32 vcc, s[14:15], v[0:1]
	s_or_b64 s[22:23], vcc, s[22:23]
	s_andn2_b64 exec, exec, s[22:23]
	s_cbranch_execz .LBB79_12
.LBB79_3:                               ; =>This Loop Header: Depth=1
                                        ;     Child Loop BB79_4 Depth 2
	s_and_b64 vcc, exec, s[0:1]
	v_pk_mov_b32 v[8:9], 0, 0
	s_mov_b64 s[24:25], s[4:5]
	s_mov_b32 s38, s37
	v_pk_mov_b32 v[10:11], v[0:1], v[0:1] op_sel:[0,1]
	v_pk_mov_b32 v[12:13], v[0:1], v[0:1] op_sel:[0,1]
	s_cbranch_vccnz .LBB79_10
.LBB79_4:                               ;   Parent Loop BB79_3 Depth=1
                                        ; =>  This Inner Loop Header: Depth=2
	s_load_dwordx2 s[26:27], s[24:25], 0x0
                                        ; implicit-def: $vgpr12_vgpr13
	s_waitcnt lgkmcnt(0)
	v_or_b32_e32 v3, s27, v11
	v_cmp_ne_u64_e32 vcc, 0, v[2:3]
	s_and_saveexec_b64 s[2:3], vcc
	s_xor_b64 s[28:29], exec, s[2:3]
	s_cbranch_execz .LBB79_6
; %bb.5:                                ;   in Loop: Header=BB79_4 Depth=2
	s_ashr_i32 s30, s27, 31
	s_add_u32 s2, s26, s30
	s_mov_b32 s31, s30
	s_addc_u32 s3, s27, s30
	s_xor_b64 s[34:35], s[2:3], s[30:31]
	v_cvt_f32_u32_e32 v3, s34
	v_cvt_f32_u32_e32 v12, s35
	s_sub_u32 s2, 0, s34
	s_subb_u32 s3, 0, s35
	v_mac_f32_e32 v3, 0x4f800000, v12
	v_rcp_f32_e32 v3, v3
	v_mul_f32_e32 v3, 0x5f7ffffc, v3
	v_mul_f32_e32 v12, 0x2f800000, v3
	v_trunc_f32_e32 v12, v12
	v_mac_f32_e32 v3, 0xcf800000, v12
	v_cvt_u32_f32_e32 v12, v12
	v_cvt_u32_f32_e32 v3, v3
	v_mul_lo_u32 v13, s2, v12
	v_mul_hi_u32 v15, s2, v3
	v_mul_lo_u32 v14, s3, v3
	v_add_u32_e32 v13, v15, v13
	v_mul_lo_u32 v16, s2, v3
	v_add_u32_e32 v13, v13, v14
	v_mul_lo_u32 v15, v3, v13
	v_mul_hi_u32 v17, v3, v16
	v_mul_hi_u32 v14, v3, v13
	v_add_co_u32_e32 v15, vcc, v17, v15
	v_addc_co_u32_e32 v14, vcc, 0, v14, vcc
	v_mul_hi_u32 v18, v12, v16
	v_mul_lo_u32 v16, v12, v16
	v_add_co_u32_e32 v15, vcc, v15, v16
	v_mul_hi_u32 v17, v12, v13
	v_addc_co_u32_e32 v14, vcc, v14, v18, vcc
	v_addc_co_u32_e32 v15, vcc, 0, v17, vcc
	v_mul_lo_u32 v13, v12, v13
	v_add_co_u32_e32 v13, vcc, v14, v13
	v_addc_co_u32_e32 v14, vcc, 0, v15, vcc
	v_add_co_u32_e32 v3, vcc, v3, v13
	v_addc_co_u32_e32 v12, vcc, v12, v14, vcc
	v_mul_lo_u32 v13, s2, v12
	v_mul_hi_u32 v14, s2, v3
	v_add_u32_e32 v13, v14, v13
	v_mul_lo_u32 v14, s3, v3
	v_add_u32_e32 v13, v13, v14
	v_mul_lo_u32 v15, s2, v3
	v_mul_hi_u32 v16, v12, v15
	v_mul_lo_u32 v17, v12, v15
	v_mul_lo_u32 v19, v3, v13
	v_mul_hi_u32 v15, v3, v15
	v_mul_hi_u32 v18, v3, v13
	v_add_co_u32_e32 v15, vcc, v15, v19
	v_addc_co_u32_e32 v18, vcc, 0, v18, vcc
	v_add_co_u32_e32 v15, vcc, v15, v17
	v_mul_hi_u32 v14, v12, v13
	v_addc_co_u32_e32 v15, vcc, v18, v16, vcc
	v_addc_co_u32_e32 v14, vcc, 0, v14, vcc
	v_mul_lo_u32 v13, v12, v13
	v_add_co_u32_e32 v13, vcc, v15, v13
	v_addc_co_u32_e32 v14, vcc, 0, v14, vcc
	v_add_co_u32_e32 v3, vcc, v3, v13
	v_addc_co_u32_e32 v14, vcc, v12, v14, vcc
	v_ashrrev_i32_e32 v16, 31, v11
	v_add_co_u32_e32 v12, vcc, v10, v16
	v_addc_co_u32_e32 v13, vcc, v11, v16, vcc
	v_xor_b32_e32 v18, v12, v16
	v_xor_b32_e32 v17, v13, v16
	v_mad_u64_u32 v[12:13], s[2:3], v18, v14, 0
	v_mul_hi_u32 v15, v18, v3
	v_add_co_u32_e32 v19, vcc, v15, v12
	v_addc_co_u32_e32 v20, vcc, 0, v13, vcc
	v_mad_u64_u32 v[12:13], s[2:3], v17, v14, 0
	v_mad_u64_u32 v[14:15], s[2:3], v17, v3, 0
	v_add_co_u32_e32 v3, vcc, v19, v14
	v_addc_co_u32_e32 v3, vcc, v20, v15, vcc
	v_addc_co_u32_e32 v13, vcc, 0, v13, vcc
	v_add_co_u32_e32 v3, vcc, v3, v12
	v_addc_co_u32_e32 v14, vcc, 0, v13, vcc
	v_mul_lo_u32 v15, s35, v3
	v_mul_lo_u32 v19, s34, v14
	v_mad_u64_u32 v[12:13], s[2:3], s34, v3, 0
	v_add3_u32 v13, v13, v19, v15
	v_sub_u32_e32 v15, v17, v13
	v_mov_b32_e32 v19, s35
	v_sub_co_u32_e32 v12, vcc, v18, v12
	v_subb_co_u32_e64 v15, s[2:3], v15, v19, vcc
	v_subrev_co_u32_e64 v18, s[2:3], s34, v12
	v_subbrev_co_u32_e64 v15, s[2:3], 0, v15, s[2:3]
	v_cmp_le_u32_e64 s[2:3], s35, v15
	v_cndmask_b32_e64 v19, 0, -1, s[2:3]
	v_cmp_le_u32_e64 s[2:3], s34, v18
	v_cndmask_b32_e64 v18, 0, -1, s[2:3]
	v_cmp_eq_u32_e64 s[2:3], s35, v15
	v_cndmask_b32_e64 v15, v19, v18, s[2:3]
	v_add_co_u32_e64 v18, s[2:3], 2, v3
	v_subb_co_u32_e32 v13, vcc, v17, v13, vcc
	v_addc_co_u32_e64 v19, s[2:3], 0, v14, s[2:3]
	v_cmp_le_u32_e32 vcc, s35, v13
	v_add_co_u32_e64 v20, s[2:3], 1, v3
	v_cndmask_b32_e64 v17, 0, -1, vcc
	v_cmp_le_u32_e32 vcc, s34, v12
	v_addc_co_u32_e64 v21, s[2:3], 0, v14, s[2:3]
	v_cndmask_b32_e64 v12, 0, -1, vcc
	v_cmp_eq_u32_e32 vcc, s35, v13
	v_cmp_ne_u32_e64 s[2:3], 0, v15
	v_cndmask_b32_e32 v12, v17, v12, vcc
	v_cmp_ne_u32_e32 vcc, 0, v12
	v_cndmask_b32_e64 v13, v20, v18, s[2:3]
	v_cndmask_b32_e64 v15, v21, v19, s[2:3]
	v_cndmask_b32_e32 v3, v3, v13, vcc
	v_xor_b32_e32 v13, s30, v16
	v_cndmask_b32_e32 v12, v14, v15, vcc
	v_xor_b32_e32 v3, v3, v13
	v_xor_b32_e32 v14, v12, v13
	v_sub_co_u32_e32 v12, vcc, v3, v13
	v_subb_co_u32_e32 v13, vcc, v14, v13, vcc
.LBB79_6:                               ;   in Loop: Header=BB79_4 Depth=2
	s_andn2_saveexec_b64 s[2:3], s[28:29]
	s_cbranch_execz .LBB79_8
; %bb.7:                                ;   in Loop: Header=BB79_4 Depth=2
	v_cvt_f32_u32_e32 v3, s26
	s_sub_i32 s28, 0, s26
	v_rcp_iflag_f32_e32 v3, v3
	v_mul_f32_e32 v3, 0x4f7ffffe, v3
	v_cvt_u32_f32_e32 v3, v3
	v_mul_lo_u32 v12, s28, v3
	v_mul_hi_u32 v12, v3, v12
	v_add_u32_e32 v3, v3, v12
	v_mul_hi_u32 v3, v10, v3
	v_mul_lo_u32 v12, v3, s26
	v_sub_u32_e32 v12, v10, v12
	v_add_u32_e32 v13, 1, v3
	v_subrev_u32_e32 v14, s26, v12
	v_cmp_le_u32_e32 vcc, s26, v12
	v_cndmask_b32_e32 v12, v12, v14, vcc
	v_cndmask_b32_e32 v3, v3, v13, vcc
	v_add_u32_e32 v13, 1, v3
	v_cmp_le_u32_e32 vcc, s26, v12
	v_cndmask_b32_e32 v12, v3, v13, vcc
	v_mov_b32_e32 v13, v2
.LBB79_8:                               ;   in Loop: Header=BB79_4 Depth=2
	s_or_b64 exec, exec, s[2:3]
	v_mad_u64_u32 v[14:15], s[2:3], v12, s26, 0
	s_load_dwordx2 s[2:3], s[24:25], 0xc8
	v_mul_lo_u32 v3, v13, s26
	v_mul_lo_u32 v16, v12, s27
	v_add3_u32 v3, v15, v16, v3
	v_sub_co_u32_e32 v10, vcc, v10, v14
	s_add_i32 s38, s38, -1
	v_subb_co_u32_e32 v3, vcc, v11, v3, vcc
	s_add_u32 s24, s24, -8
	s_waitcnt lgkmcnt(0)
	v_mul_lo_u32 v3, s2, v3
	v_mul_lo_u32 v11, s3, v10
	v_mad_u64_u32 v[8:9], s[2:3], s2, v10, v[8:9]
	s_addc_u32 s25, s25, -1
	s_cmp_gt_u32 s38, 2
	v_add3_u32 v9, v11, v9, v3
	s_cbranch_scc0 .LBB79_10
; %bb.9:                                ;   in Loop: Header=BB79_4 Depth=2
	v_pk_mov_b32 v[10:11], v[12:13], v[12:13] op_sel:[0,1]
	s_branch .LBB79_4
.LBB79_10:                              ;   in Loop: Header=BB79_3 Depth=1
	s_waitcnt lgkmcnt(0)
	v_mul_lo_u32 v3, s19, v12
	v_mul_lo_u32 v13, s18, v13
	v_mad_u64_u32 v[10:11], s[2:3], s18, v12, 0
	v_add3_u32 v11, v11, v13, v3
	v_lshlrev_b64 v[10:11], 3, v[10:11]
	v_mov_b32_e32 v3, s21
	v_add_co_u32_e32 v10, vcc, s20, v10
	v_addc_co_u32_e32 v3, vcc, v3, v11, vcc
	v_lshlrev_b64 v[8:9], 3, v[8:9]
	v_add_co_u32_e32 v8, vcc, v10, v8
	v_addc_co_u32_e32 v9, vcc, v3, v9, vcc
	global_load_dwordx2 v[8:9], v[8:9], off
	s_waitcnt vmcnt(0)
	v_cmp_le_f64_e32 vcc, s[10:11], v[8:9]
	v_cmp_ge_f64_e64 s[2:3], s[12:13], v[8:9]
	s_and_b64 s[24:25], vcc, s[2:3]
	s_and_saveexec_b64 s[2:3], s[24:25]
	s_cbranch_execz .LBB79_2
; %bb.11:                               ;   in Loop: Header=BB79_3 Depth=1
	v_add_f64 v[8:9], v[8:9], -s[10:11]
	v_mul_f64 v[8:9], v[8:9], v[4:5]
	v_div_scale_f64 v[10:11], s[24:25], v[6:7], v[6:7], v[8:9]
	v_rcp_f64_e32 v[12:13], v[10:11]
	v_mov_b32_e32 v14, 0
	v_mov_b32_e32 v15, 0x3ff00000
	v_fma_f64 v[16:17], -v[10:11], v[12:13], 1.0
	v_fmac_f64_e32 v[12:13], v[12:13], v[16:17]
	v_fma_f64 v[16:17], -v[10:11], v[12:13], 1.0
	v_fmac_f64_e32 v[12:13], v[12:13], v[16:17]
	v_div_scale_f64 v[16:17], vcc, v[8:9], v[6:7], v[8:9]
	v_mul_f64 v[18:19], v[16:17], v[12:13]
	v_fma_f64 v[10:11], -v[10:11], v[18:19], v[16:17]
	s_nop 1
	v_div_fmas_f64 v[10:11], v[10:11], v[12:13], v[18:19]
	v_div_fixup_f64 v[8:9], v[10:11], v[6:7], v[8:9]
	v_cvt_i32_f64_e32 v8, v[8:9]
	v_ashrrev_i32_e32 v9, 31, v8
	v_cmp_eq_u64_e32 vcc, s[8:9], v[8:9]
	v_cndmask_b32_e64 v3, 0, 1, vcc
	v_sub_co_u32_e32 v3, vcc, v8, v3
	v_subbrev_co_u32_e32 v8, vcc, 0, v9, vcc
	v_mul_lo_u32 v10, v8, s16
	v_mul_lo_u32 v11, v3, s17
	v_mad_u64_u32 v[8:9], s[24:25], v3, s16, 0
	v_add3_u32 v9, v9, v11, v10
	v_lshlrev_b64 v[8:9], 3, v[8:9]
	v_mov_b32_e32 v3, s7
	v_add_co_u32_e32 v8, vcc, s6, v8
	v_addc_co_u32_e32 v9, vcc, v3, v9, vcc
	global_atomic_add_f64 v[8:9], v[14:15], off
	s_branch .LBB79_2
.LBB79_12:
	s_endpgm
	.section	.rodata,"a",@progbits
	.p2align	6, 0x0
	.amdhsa_kernel _ZN2at4cuda17kernelHistogram1DIddlLi1ELi2ELin1ELNS0_23CUDAHistogramMemoryTypeE1EZNS0_21CUDA_tensor_histogramIddLb0EEEbNS_6TensorES4_S4_lNS_14AccumulateTypeIT0_Lb1EE4typeES8_NS0_13TensorArgTypeES9_S9_EUllE0_EEvNS0_6detail10TensorInfoIT_T1_EESF_NSC_IKS6_SE_EElS8_S8_SE_T6_
		.amdhsa_group_segment_fixed_size 0
		.amdhsa_private_segment_fixed_size 0
		.amdhsa_kernarg_size 1544
		.amdhsa_user_sgpr_count 6
		.amdhsa_user_sgpr_private_segment_buffer 1
		.amdhsa_user_sgpr_dispatch_ptr 0
		.amdhsa_user_sgpr_queue_ptr 0
		.amdhsa_user_sgpr_kernarg_segment_ptr 1
		.amdhsa_user_sgpr_dispatch_id 0
		.amdhsa_user_sgpr_flat_scratch_init 0
		.amdhsa_user_sgpr_kernarg_preload_length 0
		.amdhsa_user_sgpr_kernarg_preload_offset 0
		.amdhsa_user_sgpr_private_segment_size 0
		.amdhsa_uses_dynamic_stack 0
		.amdhsa_system_sgpr_private_segment_wavefront_offset 0
		.amdhsa_system_sgpr_workgroup_id_x 1
		.amdhsa_system_sgpr_workgroup_id_y 0
		.amdhsa_system_sgpr_workgroup_id_z 0
		.amdhsa_system_sgpr_workgroup_info 0
		.amdhsa_system_vgpr_workitem_id 0
		.amdhsa_next_free_vgpr 22
		.amdhsa_next_free_sgpr 39
		.amdhsa_accum_offset 24
		.amdhsa_reserve_vcc 1
		.amdhsa_reserve_flat_scratch 0
		.amdhsa_float_round_mode_32 0
		.amdhsa_float_round_mode_16_64 0
		.amdhsa_float_denorm_mode_32 3
		.amdhsa_float_denorm_mode_16_64 3
		.amdhsa_dx10_clamp 1
		.amdhsa_ieee_mode 1
		.amdhsa_fp16_overflow 0
		.amdhsa_tg_split 0
		.amdhsa_exception_fp_ieee_invalid_op 0
		.amdhsa_exception_fp_denorm_src 0
		.amdhsa_exception_fp_ieee_div_zero 0
		.amdhsa_exception_fp_ieee_overflow 0
		.amdhsa_exception_fp_ieee_underflow 0
		.amdhsa_exception_fp_ieee_inexact 0
		.amdhsa_exception_int_div_zero 0
	.end_amdhsa_kernel
	.section	.text._ZN2at4cuda17kernelHistogram1DIddlLi1ELi2ELin1ELNS0_23CUDAHistogramMemoryTypeE1EZNS0_21CUDA_tensor_histogramIddLb0EEEbNS_6TensorES4_S4_lNS_14AccumulateTypeIT0_Lb1EE4typeES8_NS0_13TensorArgTypeES9_S9_EUllE0_EEvNS0_6detail10TensorInfoIT_T1_EESF_NSC_IKS6_SE_EElS8_S8_SE_T6_,"axG",@progbits,_ZN2at4cuda17kernelHistogram1DIddlLi1ELi2ELin1ELNS0_23CUDAHistogramMemoryTypeE1EZNS0_21CUDA_tensor_histogramIddLb0EEEbNS_6TensorES4_S4_lNS_14AccumulateTypeIT0_Lb1EE4typeES8_NS0_13TensorArgTypeES9_S9_EUllE0_EEvNS0_6detail10TensorInfoIT_T1_EESF_NSC_IKS6_SE_EElS8_S8_SE_T6_,comdat
.Lfunc_end79:
	.size	_ZN2at4cuda17kernelHistogram1DIddlLi1ELi2ELin1ELNS0_23CUDAHistogramMemoryTypeE1EZNS0_21CUDA_tensor_histogramIddLb0EEEbNS_6TensorES4_S4_lNS_14AccumulateTypeIT0_Lb1EE4typeES8_NS0_13TensorArgTypeES9_S9_EUllE0_EEvNS0_6detail10TensorInfoIT_T1_EESF_NSC_IKS6_SE_EElS8_S8_SE_T6_, .Lfunc_end79-_ZN2at4cuda17kernelHistogram1DIddlLi1ELi2ELin1ELNS0_23CUDAHistogramMemoryTypeE1EZNS0_21CUDA_tensor_histogramIddLb0EEEbNS_6TensorES4_S4_lNS_14AccumulateTypeIT0_Lb1EE4typeES8_NS0_13TensorArgTypeES9_S9_EUllE0_EEvNS0_6detail10TensorInfoIT_T1_EESF_NSC_IKS6_SE_EElS8_S8_SE_T6_
                                        ; -- End function
	.section	.AMDGPU.csdata,"",@progbits
; Kernel info:
; codeLenInByte = 1556
; NumSgprs: 43
; NumVgprs: 22
; NumAgprs: 0
; TotalNumVgprs: 22
; ScratchSize: 0
; MemoryBound: 0
; FloatMode: 240
; IeeeMode: 1
; LDSByteSize: 0 bytes/workgroup (compile time only)
; SGPRBlocks: 5
; VGPRBlocks: 2
; NumSGPRsForWavesPerEU: 43
; NumVGPRsForWavesPerEU: 22
; AccumOffset: 24
; Occupancy: 8
; WaveLimiterHint : 1
; COMPUTE_PGM_RSRC2:SCRATCH_EN: 0
; COMPUTE_PGM_RSRC2:USER_SGPR: 6
; COMPUTE_PGM_RSRC2:TRAP_HANDLER: 0
; COMPUTE_PGM_RSRC2:TGID_X_EN: 1
; COMPUTE_PGM_RSRC2:TGID_Y_EN: 0
; COMPUTE_PGM_RSRC2:TGID_Z_EN: 0
; COMPUTE_PGM_RSRC2:TIDIG_COMP_CNT: 0
; COMPUTE_PGM_RSRC3_GFX90A:ACCUM_OFFSET: 5
; COMPUTE_PGM_RSRC3_GFX90A:TG_SPLIT: 0
	.section	.text._ZN2at4cuda17kernelHistogram1DIfflLi1ELi2ELin1ELNS0_23CUDAHistogramMemoryTypeE0EZNS0_21CUDA_tensor_histogramIffLb0EEEbNS_6TensorES4_S4_lNS_14AccumulateTypeIT0_Lb1EE4typeES8_NS0_13TensorArgTypeES9_S9_EUllE_EEvNS0_6detail10TensorInfoIT_T1_EESF_NSC_IKS6_SE_EElS8_S8_SE_T6_,"axG",@progbits,_ZN2at4cuda17kernelHistogram1DIfflLi1ELi2ELin1ELNS0_23CUDAHistogramMemoryTypeE0EZNS0_21CUDA_tensor_histogramIffLb0EEEbNS_6TensorES4_S4_lNS_14AccumulateTypeIT0_Lb1EE4typeES8_NS0_13TensorArgTypeES9_S9_EUllE_EEvNS0_6detail10TensorInfoIT_T1_EESF_NSC_IKS6_SE_EElS8_S8_SE_T6_,comdat
	.protected	_ZN2at4cuda17kernelHistogram1DIfflLi1ELi2ELin1ELNS0_23CUDAHistogramMemoryTypeE0EZNS0_21CUDA_tensor_histogramIffLb0EEEbNS_6TensorES4_S4_lNS_14AccumulateTypeIT0_Lb1EE4typeES8_NS0_13TensorArgTypeES9_S9_EUllE_EEvNS0_6detail10TensorInfoIT_T1_EESF_NSC_IKS6_SE_EElS8_S8_SE_T6_ ; -- Begin function _ZN2at4cuda17kernelHistogram1DIfflLi1ELi2ELin1ELNS0_23CUDAHistogramMemoryTypeE0EZNS0_21CUDA_tensor_histogramIffLb0EEEbNS_6TensorES4_S4_lNS_14AccumulateTypeIT0_Lb1EE4typeES8_NS0_13TensorArgTypeES9_S9_EUllE_EEvNS0_6detail10TensorInfoIT_T1_EESF_NSC_IKS6_SE_EElS8_S8_SE_T6_
	.globl	_ZN2at4cuda17kernelHistogram1DIfflLi1ELi2ELin1ELNS0_23CUDAHistogramMemoryTypeE0EZNS0_21CUDA_tensor_histogramIffLb0EEEbNS_6TensorES4_S4_lNS_14AccumulateTypeIT0_Lb1EE4typeES8_NS0_13TensorArgTypeES9_S9_EUllE_EEvNS0_6detail10TensorInfoIT_T1_EESF_NSC_IKS6_SE_EElS8_S8_SE_T6_
	.p2align	8
	.type	_ZN2at4cuda17kernelHistogram1DIfflLi1ELi2ELin1ELNS0_23CUDAHistogramMemoryTypeE0EZNS0_21CUDA_tensor_histogramIffLb0EEEbNS_6TensorES4_S4_lNS_14AccumulateTypeIT0_Lb1EE4typeES8_NS0_13TensorArgTypeES9_S9_EUllE_EEvNS0_6detail10TensorInfoIT_T1_EESF_NSC_IKS6_SE_EElS8_S8_SE_T6_,@function
_ZN2at4cuda17kernelHistogram1DIfflLi1ELi2ELin1ELNS0_23CUDAHistogramMemoryTypeE0EZNS0_21CUDA_tensor_histogramIffLb0EEEbNS_6TensorES4_S4_lNS_14AccumulateTypeIT0_Lb1EE4typeES8_NS0_13TensorArgTypeES9_S9_EUllE_EEvNS0_6detail10TensorInfoIT_T1_EESF_NSC_IKS6_SE_EElS8_S8_SE_T6_: ; @_ZN2at4cuda17kernelHistogram1DIfflLi1ELi2ELin1ELNS0_23CUDAHistogramMemoryTypeE0EZNS0_21CUDA_tensor_histogramIffLb0EEEbNS_6TensorES4_S4_lNS_14AccumulateTypeIT0_Lb1EE4typeES8_NS0_13TensorArgTypeES9_S9_EUllE_EEvNS0_6detail10TensorInfoIT_T1_EESF_NSC_IKS6_SE_EElS8_S8_SE_T6_
; %bb.0:
	s_load_dwordx4 s[8:11], s[4:5], 0x0
	v_mov_b32_e32 v1, 0
	s_add_u32 s24, s4, 0x698
	s_addc_u32 s25, s5, 0
                                        ; implicit-def: $sgpr7
	s_waitcnt lgkmcnt(0)
	v_cmp_gt_i64_e64 s[0:1], s[10:11], v[0:1]
	v_cmp_le_i64_e32 vcc, s[10:11], v[0:1]
	s_and_saveexec_b64 s[2:3], vcc
	s_xor_b64 s[2:3], exec, s[2:3]
	s_cbranch_execz .LBB80_2
; %bb.1:
	s_load_dword s7, s[24:25], 0xc
.LBB80_2:
	s_or_saveexec_b64 s[12:13], s[2:3]
	s_load_dwordx2 s[20:21], s[4:5], 0xd0
	s_load_dwordx2 s[22:23], s[4:5], 0x5c8
	s_waitcnt lgkmcnt(0)
	v_mov_b32_e32 v4, s7
	s_xor_b64 exec, exec, s[12:13]
	s_cbranch_execz .LBB80_16
; %bb.3:
	s_load_dword s7, s[24:25], 0xc
	v_mov_b32_e32 v2, s11
	s_mov_b32 s17, 0
	s_waitcnt lgkmcnt(0)
	s_and_b32 s16, s7, 0xffff
	v_add_co_u32_e32 v4, vcc, s16, v0
	v_addc_co_u32_e64 v5, s[2:3], 0, 0, vcc
	v_cmp_gt_i64_e32 vcc, s[10:11], v[4:5]
	v_cndmask_b32_e32 v6, v5, v2, vcc
	v_mov_b32_e32 v2, s10
	v_cndmask_b32_e32 v3, v4, v2, vcc
	v_cndmask_b32_e64 v2, 0, 1, vcc
	v_add_co_u32_e32 v4, vcc, v4, v2
	v_addc_co_u32_e32 v5, vcc, 0, v5, vcc
	v_sub_co_u32_e32 v3, vcc, v3, v4
	v_subb_co_u32_e32 v5, vcc, v6, v5, vcc
	v_mov_b32_e32 v4, 0
	v_cmp_ne_u64_e32 vcc, 0, v[4:5]
                                        ; implicit-def: $vgpr6_vgpr7
	s_and_saveexec_b64 s[2:3], vcc
	s_xor_b64 s[14:15], exec, s[2:3]
	s_cbranch_execz .LBB80_5
; %bb.4:
	v_cvt_f32_u32_e32 v4, s16
	v_mov_b32_e32 v6, 0x4f800000
	s_sub_u32 s2, 0, s16
	s_subb_u32 s3, 0, 0
	v_mac_f32_e32 v4, 0, v6
	v_rcp_f32_e32 v4, v4
	v_mul_f32_e32 v4, 0x5f7ffffc, v4
	v_mul_f32_e32 v6, 0x2f800000, v4
	v_trunc_f32_e32 v6, v6
	v_madmk_f32 v4, v6, 0xcf800000, v4
	v_cvt_u32_f32_e32 v6, v6
	v_cvt_u32_f32_e32 v4, v4
	v_mul_lo_u32 v7, s2, v6
	v_mul_hi_u32 v9, s2, v4
	v_mul_lo_u32 v8, s3, v4
	v_add_u32_e32 v7, v9, v7
	v_mul_lo_u32 v10, s2, v4
	v_add_u32_e32 v7, v7, v8
	v_mul_hi_u32 v9, v4, v10
	v_mul_lo_u32 v11, v4, v7
	v_mul_hi_u32 v8, v4, v7
	v_add_co_u32_e32 v9, vcc, v9, v11
	v_addc_co_u32_e32 v8, vcc, 0, v8, vcc
	v_mul_hi_u32 v12, v6, v10
	v_mul_lo_u32 v10, v6, v10
	v_add_co_u32_e32 v9, vcc, v9, v10
	v_mul_hi_u32 v11, v6, v7
	v_addc_co_u32_e32 v8, vcc, v8, v12, vcc
	v_addc_co_u32_e32 v9, vcc, 0, v11, vcc
	v_mul_lo_u32 v7, v6, v7
	v_add_co_u32_e32 v7, vcc, v8, v7
	v_addc_co_u32_e32 v8, vcc, 0, v9, vcc
	v_add_co_u32_e32 v4, vcc, v4, v7
	v_addc_co_u32_e32 v6, vcc, v6, v8, vcc
	v_mul_lo_u32 v7, s2, v6
	v_mul_hi_u32 v8, s2, v4
	v_add_u32_e32 v7, v8, v7
	v_mul_lo_u32 v8, s3, v4
	v_add_u32_e32 v7, v7, v8
	v_mul_lo_u32 v9, s2, v4
	v_mul_hi_u32 v10, v6, v9
	v_mul_lo_u32 v11, v6, v9
	v_mul_lo_u32 v13, v4, v7
	v_mul_hi_u32 v9, v4, v9
	v_mul_hi_u32 v12, v4, v7
	v_add_co_u32_e32 v9, vcc, v9, v13
	v_addc_co_u32_e32 v12, vcc, 0, v12, vcc
	v_add_co_u32_e32 v9, vcc, v9, v11
	v_mul_hi_u32 v8, v6, v7
	v_addc_co_u32_e32 v9, vcc, v12, v10, vcc
	v_addc_co_u32_e32 v8, vcc, 0, v8, vcc
	v_mul_lo_u32 v7, v6, v7
	v_add_co_u32_e32 v7, vcc, v9, v7
	v_addc_co_u32_e32 v8, vcc, 0, v8, vcc
	v_add_co_u32_e32 v4, vcc, v4, v7
	v_addc_co_u32_e32 v8, vcc, v6, v8, vcc
	v_mad_u64_u32 v[6:7], s[2:3], v3, v8, 0
	v_mul_hi_u32 v9, v3, v4
	v_add_co_u32_e32 v10, vcc, v9, v6
	v_addc_co_u32_e32 v11, vcc, 0, v7, vcc
	v_mad_u64_u32 v[6:7], s[2:3], v5, v8, 0
	v_mad_u64_u32 v[8:9], s[2:3], v5, v4, 0
	v_add_co_u32_e32 v4, vcc, v10, v8
	v_addc_co_u32_e32 v4, vcc, v11, v9, vcc
	v_addc_co_u32_e32 v7, vcc, 0, v7, vcc
	v_add_co_u32_e32 v10, vcc, v4, v6
	v_addc_co_u32_e32 v11, vcc, 0, v7, vcc
	v_mad_u64_u32 v[6:7], s[2:3], s16, v10, 0
	v_mov_b32_e32 v4, v7
	v_mad_u64_u32 v[8:9], s[2:3], s16, v11, v[4:5]
	v_sub_co_u32_e32 v3, vcc, v3, v6
	v_subb_co_u32_e32 v4, vcc, v5, v8, vcc
	v_subrev_co_u32_e32 v5, vcc, s16, v3
	v_subbrev_co_u32_e32 v6, vcc, 0, v4, vcc
	v_cmp_le_u32_e32 vcc, s16, v5
	v_cndmask_b32_e64 v5, 0, -1, vcc
	v_cmp_eq_u32_e32 vcc, 0, v6
	v_cndmask_b32_e32 v5, -1, v5, vcc
	v_add_co_u32_e32 v6, vcc, 2, v10
	v_addc_co_u32_e32 v7, vcc, 0, v11, vcc
	v_add_co_u32_e32 v8, vcc, 1, v10
	v_cmp_le_u32_e64 s[2:3], s16, v3
	v_addc_co_u32_e32 v9, vcc, 0, v11, vcc
	v_cndmask_b32_e64 v3, 0, -1, s[2:3]
	v_cmp_eq_u32_e64 s[2:3], 0, v4
	v_cmp_ne_u32_e32 vcc, 0, v5
	v_cndmask_b32_e64 v3, -1, v3, s[2:3]
	v_cndmask_b32_e32 v5, v9, v7, vcc
	v_cmp_ne_u32_e64 s[2:3], 0, v3
	v_cndmask_b32_e32 v3, v8, v6, vcc
	v_cndmask_b32_e64 v7, v11, v5, s[2:3]
	v_cndmask_b32_e64 v6, v10, v3, s[2:3]
                                        ; implicit-def: $vgpr3
.LBB80_5:
	s_andn2_saveexec_b64 s[2:3], s[14:15]
	s_cbranch_execz .LBB80_7
; %bb.6:
	v_cvt_f32_u32_e32 v4, s16
	s_sub_i32 s14, 0, s16
	v_mov_b32_e32 v7, 0
	v_rcp_iflag_f32_e32 v4, v4
	v_mul_f32_e32 v4, 0x4f7ffffe, v4
	v_cvt_u32_f32_e32 v4, v4
	v_mul_lo_u32 v5, s14, v4
	v_mul_hi_u32 v5, v4, v5
	v_add_u32_e32 v4, v4, v5
	v_mul_hi_u32 v4, v3, v4
	v_mul_lo_u32 v5, v4, s16
	v_sub_u32_e32 v3, v3, v5
	v_add_u32_e32 v6, 1, v4
	v_subrev_u32_e32 v5, s16, v3
	v_cmp_le_u32_e32 vcc, s16, v3
	v_cndmask_b32_e32 v3, v3, v5, vcc
	v_cndmask_b32_e32 v4, v4, v6, vcc
	v_add_u32_e32 v5, 1, v4
	v_cmp_le_u32_e32 vcc, s16, v3
	v_cndmask_b32_e32 v6, v4, v5, vcc
.LBB80_7:
	s_or_b64 exec, exec, s[2:3]
	v_add_co_u32_e32 v2, vcc, v6, v2
	v_addc_co_u32_e32 v3, vcc, 0, v7, vcc
	v_add_co_u32_e32 v4, vcc, 1, v2
	v_addc_co_u32_e32 v5, vcc, 0, v3, vcc
	v_cmp_lt_u64_e32 vcc, 1, v[4:5]
	v_cmp_eq_u16_e64 s[2:3], s7, 1
	s_and_b64 s[26:27], vcc, s[2:3]
	s_mov_b64 s[14:15], -1
	v_pk_mov_b32 v[2:3], v[0:1], v[0:1] op_sel:[0,1]
                                        ; implicit-def: $sgpr18
	s_and_saveexec_b64 s[2:3], s[26:27]
	s_cbranch_execz .LBB80_11
; %bb.8:
	v_and_b32_e32 v6, -2, v4
	v_mov_b32_e32 v7, v5
	v_lshl_add_u32 v8, v0, 2, 0
	s_mov_b64 s[14:15], 0
	v_mov_b32_e32 v9, 0
	v_pk_mov_b32 v[2:3], v[6:7], v[6:7] op_sel:[0,1]
.LBB80_9:                               ; =>This Inner Loop Header: Depth=1
	v_add_co_u32_e32 v2, vcc, -2, v2
	v_addc_co_u32_e32 v3, vcc, -1, v3, vcc
	v_cmp_eq_u64_e32 vcc, 0, v[2:3]
	ds_write2_b32 v8, v9, v9 offset1:1
	s_or_b64 s[14:15], vcc, s[14:15]
	v_add_u32_e32 v8, 8, v8
	s_andn2_b64 exec, exec, s[14:15]
	s_cbranch_execnz .LBB80_9
; %bb.10:
	s_or_b64 exec, exec, s[14:15]
	v_mad_u64_u32 v[2:3], s[14:15], v6, s16, v[0:1]
	v_mov_b32_e32 v8, v3
	v_mad_u64_u32 v[8:9], s[14:15], v7, s16, v[8:9]
	v_cmp_ne_u64_e32 vcc, v[4:5], v[6:7]
	v_mov_b32_e32 v3, v8
	s_mov_b32 s18, 1
	s_orn2_b64 s[14:15], vcc, exec
.LBB80_11:
	s_or_b64 exec, exec, s[2:3]
	v_mov_b32_e32 v4, s18
	s_and_saveexec_b64 s[2:3], s[14:15]
	s_cbranch_execz .LBB80_15
; %bb.12:
	v_lshl_add_u32 v4, v2, 2, 0
	s_lshl_b32 s18, s16, 2
	s_mov_b64 s[14:15], 0
	v_mov_b32_e32 v5, 0
	v_mov_b32_e32 v6, s17
.LBB80_13:                              ; =>This Inner Loop Header: Depth=1
	v_add_co_u32_e32 v2, vcc, s16, v2
	v_addc_co_u32_e32 v3, vcc, v3, v6, vcc
	v_cmp_le_i64_e32 vcc, s[10:11], v[2:3]
	ds_write_b32 v4, v5
	s_or_b64 s[14:15], vcc, s[14:15]
	v_add_u32_e32 v4, s18, v4
	s_andn2_b64 exec, exec, s[14:15]
	s_cbranch_execnz .LBB80_13
; %bb.14:
	s_or_b64 exec, exec, s[14:15]
	v_mov_b32_e32 v4, s7
.LBB80_15:
	s_or_b64 exec, exec, s[2:3]
.LBB80_16:
	s_or_b64 exec, exec, s[12:13]
	s_load_dwordx4 s[12:15], s[4:5], 0x4f0
	v_and_b32_e32 v2, 0xffff, v4
	v_mad_u64_u32 v[4:5], s[2:3], s6, v2, v[0:1]
	v_mov_b32_e32 v6, 0
	v_mov_b32_e32 v5, v6
	s_waitcnt lgkmcnt(0)
	v_cmp_gt_i64_e32 vcc, s[12:13], v[4:5]
	s_barrier
	s_waitcnt lgkmcnt(0)
                                        ; kill: def $vgpr3 killed $sgpr0 killed $exec
	s_and_saveexec_b64 s[6:7], vcc
	s_cbranch_execz .LBB80_28
; %bb.17:
	s_load_dword s30, s[4:5], 0x4d8
	s_load_dwordx2 s[26:27], s[4:5], 0x410
	s_load_dwordx4 s[16:19], s[4:5], 0x4e0
	s_add_u32 s31, s4, 0x340
	s_addc_u32 s34, s5, 0
	s_waitcnt lgkmcnt(0)
	s_cmp_gt_i32 s30, 1
	s_cselect_b64 s[2:3], -1, 0
	s_xor_b32 s29, s16, s17
	s_flbit_i32 s28, s17
	s_ashr_i32 s29, s29, 31
	s_add_i32 s28, s28, -1
	s_add_i32 s29, s29, 32
	s_min_u32 s33, s28, s29
	s_lshl_b64 s[28:29], s[16:17], s33
	s_min_u32 s28, s28, 1
	s_or_b32 s28, s29, s28
	v_cvt_f32_i32_e32 v3, s28
	s_load_dword s35, s[24:25], 0x0
	s_load_dwordx2 s[28:29], s[4:5], 0x340
	s_sub_i32 s4, 32, s33
	s_mov_b32 s5, 0
	v_ldexp_f32 v3, v3, s4
	s_add_i32 s4, s30, -1
	s_add_i32 s33, s30, 1
	s_lshl_b64 s[4:5], s[4:5], 3
	s_add_u32 s4, s4, s31
	v_mov_b32_e32 v7, s18
	s_addc_u32 s5, s5, s34
	v_sub_f32_e32 v9, s19, v7
	s_add_u32 s24, s4, 8
	v_cndmask_b32_e64 v7, 0, 1, s[2:3]
	s_waitcnt lgkmcnt(0)
	v_mul_lo_u32 v8, s35, v2
	s_addc_u32 s25, s5, 0
	s_mov_b64 s[30:31], 0
	v_cmp_ne_u32_e64 s[2:3], 1, v7
	s_branch .LBB80_19
.LBB80_18:                              ;   in Loop: Header=BB80_19 Depth=1
	s_or_b64 exec, exec, s[4:5]
	v_add_co_u32_e32 v4, vcc, v4, v8
	v_addc_co_u32_e32 v5, vcc, 0, v5, vcc
	v_cmp_le_i64_e32 vcc, s[12:13], v[4:5]
	s_or_b64 s[30:31], vcc, s[30:31]
	s_andn2_b64 exec, exec, s[30:31]
	s_cbranch_execz .LBB80_28
.LBB80_19:                              ; =>This Loop Header: Depth=1
                                        ;     Child Loop BB80_20 Depth 2
	s_and_b64 vcc, exec, s[2:3]
	v_pk_mov_b32 v[10:11], 0, 0
	s_mov_b64 s[34:35], s[24:25]
	s_mov_b32 s44, s33
	v_pk_mov_b32 v[12:13], v[4:5], v[4:5] op_sel:[0,1]
	v_pk_mov_b32 v[14:15], v[4:5], v[4:5] op_sel:[0,1]
	s_cbranch_vccnz .LBB80_26
.LBB80_20:                              ;   Parent Loop BB80_19 Depth=1
                                        ; =>  This Inner Loop Header: Depth=2
	s_load_dwordx2 s[36:37], s[34:35], 0x0
                                        ; implicit-def: $vgpr14_vgpr15
	s_waitcnt lgkmcnt(0)
	v_or_b32_e32 v7, s37, v13
	v_cmp_ne_u64_e32 vcc, 0, v[6:7]
	s_and_saveexec_b64 s[4:5], vcc
	s_xor_b64 s[38:39], exec, s[4:5]
	s_cbranch_execz .LBB80_22
; %bb.21:                               ;   in Loop: Header=BB80_20 Depth=2
	s_ashr_i32 s40, s37, 31
	s_add_u32 s4, s36, s40
	s_mov_b32 s41, s40
	s_addc_u32 s5, s37, s40
	s_xor_b64 s[42:43], s[4:5], s[40:41]
	v_cvt_f32_u32_e32 v7, s42
	v_cvt_f32_u32_e32 v14, s43
	s_sub_u32 s4, 0, s42
	s_subb_u32 s5, 0, s43
	v_mac_f32_e32 v7, 0x4f800000, v14
	v_rcp_f32_e32 v7, v7
	v_mul_f32_e32 v7, 0x5f7ffffc, v7
	v_mul_f32_e32 v14, 0x2f800000, v7
	v_trunc_f32_e32 v14, v14
	v_mac_f32_e32 v7, 0xcf800000, v14
	v_cvt_u32_f32_e32 v14, v14
	v_cvt_u32_f32_e32 v7, v7
	v_mul_lo_u32 v15, s4, v14
	v_mul_hi_u32 v17, s4, v7
	v_mul_lo_u32 v16, s5, v7
	v_add_u32_e32 v15, v17, v15
	v_mul_lo_u32 v18, s4, v7
	v_add_u32_e32 v15, v15, v16
	v_mul_lo_u32 v17, v7, v15
	v_mul_hi_u32 v19, v7, v18
	v_mul_hi_u32 v16, v7, v15
	v_add_co_u32_e32 v17, vcc, v19, v17
	v_addc_co_u32_e32 v16, vcc, 0, v16, vcc
	v_mul_hi_u32 v20, v14, v18
	v_mul_lo_u32 v18, v14, v18
	v_add_co_u32_e32 v17, vcc, v17, v18
	v_mul_hi_u32 v19, v14, v15
	v_addc_co_u32_e32 v16, vcc, v16, v20, vcc
	v_addc_co_u32_e32 v17, vcc, 0, v19, vcc
	v_mul_lo_u32 v15, v14, v15
	v_add_co_u32_e32 v15, vcc, v16, v15
	v_addc_co_u32_e32 v16, vcc, 0, v17, vcc
	v_add_co_u32_e32 v7, vcc, v7, v15
	v_addc_co_u32_e32 v14, vcc, v14, v16, vcc
	v_mul_lo_u32 v15, s4, v14
	v_mul_hi_u32 v16, s4, v7
	v_add_u32_e32 v15, v16, v15
	v_mul_lo_u32 v16, s5, v7
	v_add_u32_e32 v15, v15, v16
	v_mul_lo_u32 v17, s4, v7
	v_mul_hi_u32 v18, v14, v17
	v_mul_lo_u32 v19, v14, v17
	v_mul_lo_u32 v21, v7, v15
	v_mul_hi_u32 v17, v7, v17
	v_mul_hi_u32 v20, v7, v15
	v_add_co_u32_e32 v17, vcc, v17, v21
	v_addc_co_u32_e32 v20, vcc, 0, v20, vcc
	v_add_co_u32_e32 v17, vcc, v17, v19
	v_mul_hi_u32 v16, v14, v15
	v_addc_co_u32_e32 v17, vcc, v20, v18, vcc
	v_addc_co_u32_e32 v16, vcc, 0, v16, vcc
	v_mul_lo_u32 v15, v14, v15
	v_add_co_u32_e32 v15, vcc, v17, v15
	v_addc_co_u32_e32 v16, vcc, 0, v16, vcc
	v_add_co_u32_e32 v7, vcc, v7, v15
	v_addc_co_u32_e32 v16, vcc, v14, v16, vcc
	v_ashrrev_i32_e32 v18, 31, v13
	v_add_co_u32_e32 v14, vcc, v12, v18
	v_addc_co_u32_e32 v15, vcc, v13, v18, vcc
	v_xor_b32_e32 v20, v14, v18
	v_xor_b32_e32 v19, v15, v18
	v_mad_u64_u32 v[14:15], s[4:5], v20, v16, 0
	v_mul_hi_u32 v17, v20, v7
	v_add_co_u32_e32 v21, vcc, v17, v14
	v_addc_co_u32_e32 v22, vcc, 0, v15, vcc
	v_mad_u64_u32 v[14:15], s[4:5], v19, v16, 0
	v_mad_u64_u32 v[16:17], s[4:5], v19, v7, 0
	v_add_co_u32_e32 v7, vcc, v21, v16
	v_addc_co_u32_e32 v7, vcc, v22, v17, vcc
	v_addc_co_u32_e32 v15, vcc, 0, v15, vcc
	v_add_co_u32_e32 v7, vcc, v7, v14
	v_addc_co_u32_e32 v16, vcc, 0, v15, vcc
	v_mul_lo_u32 v17, s43, v7
	v_mul_lo_u32 v21, s42, v16
	v_mad_u64_u32 v[14:15], s[4:5], s42, v7, 0
	v_add3_u32 v15, v15, v21, v17
	v_sub_u32_e32 v17, v19, v15
	v_mov_b32_e32 v21, s43
	v_sub_co_u32_e32 v14, vcc, v20, v14
	v_subb_co_u32_e64 v17, s[4:5], v17, v21, vcc
	v_subrev_co_u32_e64 v20, s[4:5], s42, v14
	v_subbrev_co_u32_e64 v17, s[4:5], 0, v17, s[4:5]
	v_cmp_le_u32_e64 s[4:5], s43, v17
	v_cndmask_b32_e64 v21, 0, -1, s[4:5]
	v_cmp_le_u32_e64 s[4:5], s42, v20
	v_cndmask_b32_e64 v20, 0, -1, s[4:5]
	v_cmp_eq_u32_e64 s[4:5], s43, v17
	v_cndmask_b32_e64 v17, v21, v20, s[4:5]
	v_add_co_u32_e64 v20, s[4:5], 2, v7
	v_subb_co_u32_e32 v15, vcc, v19, v15, vcc
	v_addc_co_u32_e64 v21, s[4:5], 0, v16, s[4:5]
	v_cmp_le_u32_e32 vcc, s43, v15
	v_add_co_u32_e64 v22, s[4:5], 1, v7
	v_cndmask_b32_e64 v19, 0, -1, vcc
	v_cmp_le_u32_e32 vcc, s42, v14
	v_addc_co_u32_e64 v23, s[4:5], 0, v16, s[4:5]
	v_cndmask_b32_e64 v14, 0, -1, vcc
	v_cmp_eq_u32_e32 vcc, s43, v15
	v_cmp_ne_u32_e64 s[4:5], 0, v17
	v_cndmask_b32_e32 v14, v19, v14, vcc
	v_cmp_ne_u32_e32 vcc, 0, v14
	v_cndmask_b32_e64 v15, v22, v20, s[4:5]
	v_cndmask_b32_e64 v17, v23, v21, s[4:5]
	v_cndmask_b32_e32 v7, v7, v15, vcc
	v_xor_b32_e32 v15, s40, v18
	v_cndmask_b32_e32 v14, v16, v17, vcc
	v_xor_b32_e32 v7, v7, v15
	v_xor_b32_e32 v16, v14, v15
	v_sub_co_u32_e32 v14, vcc, v7, v15
	v_subb_co_u32_e32 v15, vcc, v16, v15, vcc
.LBB80_22:                              ;   in Loop: Header=BB80_20 Depth=2
	s_andn2_saveexec_b64 s[4:5], s[38:39]
	s_cbranch_execz .LBB80_24
; %bb.23:                               ;   in Loop: Header=BB80_20 Depth=2
	v_cvt_f32_u32_e32 v7, s36
	s_sub_i32 s38, 0, s36
	v_rcp_iflag_f32_e32 v7, v7
	v_mul_f32_e32 v7, 0x4f7ffffe, v7
	v_cvt_u32_f32_e32 v7, v7
	v_mul_lo_u32 v14, s38, v7
	v_mul_hi_u32 v14, v7, v14
	v_add_u32_e32 v7, v7, v14
	v_mul_hi_u32 v7, v12, v7
	v_mul_lo_u32 v14, v7, s36
	v_sub_u32_e32 v14, v12, v14
	v_add_u32_e32 v15, 1, v7
	v_subrev_u32_e32 v16, s36, v14
	v_cmp_le_u32_e32 vcc, s36, v14
	v_cndmask_b32_e32 v14, v14, v16, vcc
	v_cndmask_b32_e32 v7, v7, v15, vcc
	v_add_u32_e32 v15, 1, v7
	v_cmp_le_u32_e32 vcc, s36, v14
	v_cndmask_b32_e32 v14, v7, v15, vcc
	v_mov_b32_e32 v15, v6
.LBB80_24:                              ;   in Loop: Header=BB80_20 Depth=2
	s_or_b64 exec, exec, s[4:5]
	v_mad_u64_u32 v[16:17], s[4:5], v14, s36, 0
	s_load_dwordx2 s[4:5], s[34:35], 0xc8
	v_mul_lo_u32 v7, v15, s36
	v_mul_lo_u32 v18, v14, s37
	v_add3_u32 v7, v17, v18, v7
	v_sub_co_u32_e32 v12, vcc, v12, v16
	s_add_i32 s44, s44, -1
	v_subb_co_u32_e32 v7, vcc, v13, v7, vcc
	s_add_u32 s34, s34, -8
	s_waitcnt lgkmcnt(0)
	v_mul_lo_u32 v7, s4, v7
	v_mul_lo_u32 v13, s5, v12
	v_mad_u64_u32 v[10:11], s[4:5], s4, v12, v[10:11]
	s_addc_u32 s35, s35, -1
	s_cmp_gt_u32 s44, 2
	v_add3_u32 v11, v13, v11, v7
	s_cbranch_scc0 .LBB80_26
; %bb.25:                               ;   in Loop: Header=BB80_20 Depth=2
	v_pk_mov_b32 v[12:13], v[14:15], v[14:15] op_sel:[0,1]
	s_branch .LBB80_20
.LBB80_26:                              ;   in Loop: Header=BB80_19 Depth=1
	v_mul_lo_u32 v7, s27, v14
	v_mul_lo_u32 v15, s26, v15
	v_mad_u64_u32 v[12:13], s[4:5], s26, v14, 0
	v_add3_u32 v13, v13, v15, v7
	v_lshlrev_b64 v[12:13], 2, v[12:13]
	v_mov_b32_e32 v7, s29
	v_add_co_u32_e32 v12, vcc, s28, v12
	v_addc_co_u32_e32 v7, vcc, v7, v13, vcc
	v_lshlrev_b64 v[10:11], 2, v[10:11]
	v_add_co_u32_e32 v10, vcc, v12, v10
	v_addc_co_u32_e32 v11, vcc, v7, v11, vcc
	global_load_dword v7, v[10:11], off
	s_waitcnt vmcnt(0)
	v_cmp_le_f32_e32 vcc, s18, v7
	v_cmp_ge_f32_e64 s[4:5], s19, v7
	s_and_b64 s[34:35], vcc, s[4:5]
	s_and_saveexec_b64 s[4:5], s[34:35]
	s_cbranch_execz .LBB80_18
; %bb.27:                               ;   in Loop: Header=BB80_19 Depth=1
	v_mul_lo_u32 v12, v5, s22
	v_mul_lo_u32 v13, v4, s23
	v_mad_u64_u32 v[10:11], s[34:35], v4, s22, 0
	v_add3_u32 v11, v11, v13, v12
	v_lshlrev_b64 v[10:11], 2, v[10:11]
	v_mov_b32_e32 v12, s15
	v_add_co_u32_e32 v10, vcc, s14, v10
	v_addc_co_u32_e32 v11, vcc, v12, v11, vcc
	global_load_dword v12, v[10:11], off
	v_subrev_f32_e32 v7, s18, v7
	v_mul_f32_e32 v7, v7, v3
	v_div_scale_f32 v10, s[34:35], v9, v9, v7
	v_rcp_f32_e32 v11, v10
	v_fma_f32 v13, -v10, v11, 1.0
	v_fmac_f32_e32 v11, v13, v11
	v_div_scale_f32 v13, vcc, v7, v9, v7
	v_mul_f32_e32 v14, v13, v11
	v_fma_f32 v15, -v10, v14, v13
	v_fmac_f32_e32 v14, v15, v11
	v_fma_f32 v10, -v10, v14, v13
	v_div_fmas_f32 v10, v10, v11, v14
	v_div_fixup_f32 v7, v10, v9, v7
	v_cvt_i32_f32_e32 v10, v7
	v_ashrrev_i32_e32 v11, 31, v10
	v_cmp_eq_u64_e32 vcc, s[16:17], v[10:11]
	v_cndmask_b32_e64 v7, 0, -1, vcc
	v_lshlrev_b32_e32 v7, 2, v7
	v_lshlrev_b32_e32 v10, 2, v10
	v_add3_u32 v7, 0, v7, v10
	s_waitcnt vmcnt(0)
	ds_add_f32 v7, v12
	s_waitcnt lgkmcnt(0)
	s_branch .LBB80_18
.LBB80_28:
	s_or_b64 exec, exec, s[6:7]
; %bb.29:
	s_barrier
	s_and_saveexec_b64 s[2:3], s[0:1]
	s_cbranch_execz .LBB80_32
; %bb.30:
	v_mad_u64_u32 v[4:5], s[0:1], s20, v0, 0
	v_mov_b32_e32 v6, v5
	v_mad_u64_u32 v[6:7], s[0:1], s21, v0, v[6:7]
	v_mov_b32_e32 v5, v6
	;; [unrolled: 2-line block ×3, first 2 shown]
	v_lshlrev_b64 v[4:5], 2, v[4:5]
	v_mad_u64_u32 v[8:9], s[0:1], s21, v2, v[8:9]
	v_mov_b32_e32 v3, s9
	v_add_co_u32_e32 v4, vcc, s8, v4
	v_mov_b32_e32 v7, v8
	v_addc_co_u32_e32 v5, vcc, v3, v5, vcc
	v_lshlrev_b64 v[6:7], 2, v[6:7]
	v_lshl_add_u32 v3, v0, 2, 0
	v_lshlrev_b32_e32 v8, 2, v2
	s_mov_b64 s[0:1], 0
.LBB80_31:                              ; =>This Inner Loop Header: Depth=1
	ds_read_b32 v9, v3
	v_add_co_u32_e32 v0, vcc, v0, v2
	v_addc_co_u32_e32 v1, vcc, 0, v1, vcc
	s_waitcnt lgkmcnt(0)
	global_atomic_add_f32 v[4:5], v9, off
	v_cmp_le_i64_e32 vcc, s[10:11], v[0:1]
	s_or_b64 s[0:1], vcc, s[0:1]
	v_add_co_u32_e32 v4, vcc, v4, v6
	v_add_u32_e32 v3, v3, v8
	v_addc_co_u32_e32 v5, vcc, v5, v7, vcc
	s_andn2_b64 exec, exec, s[0:1]
	s_cbranch_execnz .LBB80_31
.LBB80_32:
	s_endpgm
	.section	.rodata,"a",@progbits
	.p2align	6, 0x0
	.amdhsa_kernel _ZN2at4cuda17kernelHistogram1DIfflLi1ELi2ELin1ELNS0_23CUDAHistogramMemoryTypeE0EZNS0_21CUDA_tensor_histogramIffLb0EEEbNS_6TensorES4_S4_lNS_14AccumulateTypeIT0_Lb1EE4typeES8_NS0_13TensorArgTypeES9_S9_EUllE_EEvNS0_6detail10TensorInfoIT_T1_EESF_NSC_IKS6_SE_EElS8_S8_SE_T6_
		.amdhsa_group_segment_fixed_size 0
		.amdhsa_private_segment_fixed_size 0
		.amdhsa_kernarg_size 1944
		.amdhsa_user_sgpr_count 6
		.amdhsa_user_sgpr_private_segment_buffer 1
		.amdhsa_user_sgpr_dispatch_ptr 0
		.amdhsa_user_sgpr_queue_ptr 0
		.amdhsa_user_sgpr_kernarg_segment_ptr 1
		.amdhsa_user_sgpr_dispatch_id 0
		.amdhsa_user_sgpr_flat_scratch_init 0
		.amdhsa_user_sgpr_kernarg_preload_length 0
		.amdhsa_user_sgpr_kernarg_preload_offset 0
		.amdhsa_user_sgpr_private_segment_size 0
		.amdhsa_uses_dynamic_stack 0
		.amdhsa_system_sgpr_private_segment_wavefront_offset 0
		.amdhsa_system_sgpr_workgroup_id_x 1
		.amdhsa_system_sgpr_workgroup_id_y 0
		.amdhsa_system_sgpr_workgroup_id_z 0
		.amdhsa_system_sgpr_workgroup_info 0
		.amdhsa_system_vgpr_workitem_id 0
		.amdhsa_next_free_vgpr 24
		.amdhsa_next_free_sgpr 45
		.amdhsa_accum_offset 24
		.amdhsa_reserve_vcc 1
		.amdhsa_reserve_flat_scratch 0
		.amdhsa_float_round_mode_32 0
		.amdhsa_float_round_mode_16_64 0
		.amdhsa_float_denorm_mode_32 3
		.amdhsa_float_denorm_mode_16_64 3
		.amdhsa_dx10_clamp 1
		.amdhsa_ieee_mode 1
		.amdhsa_fp16_overflow 0
		.amdhsa_tg_split 0
		.amdhsa_exception_fp_ieee_invalid_op 0
		.amdhsa_exception_fp_denorm_src 0
		.amdhsa_exception_fp_ieee_div_zero 0
		.amdhsa_exception_fp_ieee_overflow 0
		.amdhsa_exception_fp_ieee_underflow 0
		.amdhsa_exception_fp_ieee_inexact 0
		.amdhsa_exception_int_div_zero 0
	.end_amdhsa_kernel
	.section	.text._ZN2at4cuda17kernelHistogram1DIfflLi1ELi2ELin1ELNS0_23CUDAHistogramMemoryTypeE0EZNS0_21CUDA_tensor_histogramIffLb0EEEbNS_6TensorES4_S4_lNS_14AccumulateTypeIT0_Lb1EE4typeES8_NS0_13TensorArgTypeES9_S9_EUllE_EEvNS0_6detail10TensorInfoIT_T1_EESF_NSC_IKS6_SE_EElS8_S8_SE_T6_,"axG",@progbits,_ZN2at4cuda17kernelHistogram1DIfflLi1ELi2ELin1ELNS0_23CUDAHistogramMemoryTypeE0EZNS0_21CUDA_tensor_histogramIffLb0EEEbNS_6TensorES4_S4_lNS_14AccumulateTypeIT0_Lb1EE4typeES8_NS0_13TensorArgTypeES9_S9_EUllE_EEvNS0_6detail10TensorInfoIT_T1_EESF_NSC_IKS6_SE_EElS8_S8_SE_T6_,comdat
.Lfunc_end80:
	.size	_ZN2at4cuda17kernelHistogram1DIfflLi1ELi2ELin1ELNS0_23CUDAHistogramMemoryTypeE0EZNS0_21CUDA_tensor_histogramIffLb0EEEbNS_6TensorES4_S4_lNS_14AccumulateTypeIT0_Lb1EE4typeES8_NS0_13TensorArgTypeES9_S9_EUllE_EEvNS0_6detail10TensorInfoIT_T1_EESF_NSC_IKS6_SE_EElS8_S8_SE_T6_, .Lfunc_end80-_ZN2at4cuda17kernelHistogram1DIfflLi1ELi2ELin1ELNS0_23CUDAHistogramMemoryTypeE0EZNS0_21CUDA_tensor_histogramIffLb0EEEbNS_6TensorES4_S4_lNS_14AccumulateTypeIT0_Lb1EE4typeES8_NS0_13TensorArgTypeES9_S9_EUllE_EEvNS0_6detail10TensorInfoIT_T1_EESF_NSC_IKS6_SE_EElS8_S8_SE_T6_
                                        ; -- End function
	.section	.AMDGPU.csdata,"",@progbits
; Kernel info:
; codeLenInByte = 2804
; NumSgprs: 49
; NumVgprs: 24
; NumAgprs: 0
; TotalNumVgprs: 24
; ScratchSize: 0
; MemoryBound: 0
; FloatMode: 240
; IeeeMode: 1
; LDSByteSize: 0 bytes/workgroup (compile time only)
; SGPRBlocks: 6
; VGPRBlocks: 2
; NumSGPRsForWavesPerEU: 49
; NumVGPRsForWavesPerEU: 24
; AccumOffset: 24
; Occupancy: 8
; WaveLimiterHint : 1
; COMPUTE_PGM_RSRC2:SCRATCH_EN: 0
; COMPUTE_PGM_RSRC2:USER_SGPR: 6
; COMPUTE_PGM_RSRC2:TRAP_HANDLER: 0
; COMPUTE_PGM_RSRC2:TGID_X_EN: 1
; COMPUTE_PGM_RSRC2:TGID_Y_EN: 0
; COMPUTE_PGM_RSRC2:TGID_Z_EN: 0
; COMPUTE_PGM_RSRC2:TIDIG_COMP_CNT: 0
; COMPUTE_PGM_RSRC3_GFX90A:ACCUM_OFFSET: 5
; COMPUTE_PGM_RSRC3_GFX90A:TG_SPLIT: 0
	.section	.text._ZN2at4cuda17kernelHistogram1DIfflLi1ELi2ELin1ELNS0_23CUDAHistogramMemoryTypeE1EZNS0_21CUDA_tensor_histogramIffLb0EEEbNS_6TensorES4_S4_lNS_14AccumulateTypeIT0_Lb1EE4typeES8_NS0_13TensorArgTypeES9_S9_EUllE_EEvNS0_6detail10TensorInfoIT_T1_EESF_NSC_IKS6_SE_EElS8_S8_SE_T6_,"axG",@progbits,_ZN2at4cuda17kernelHistogram1DIfflLi1ELi2ELin1ELNS0_23CUDAHistogramMemoryTypeE1EZNS0_21CUDA_tensor_histogramIffLb0EEEbNS_6TensorES4_S4_lNS_14AccumulateTypeIT0_Lb1EE4typeES8_NS0_13TensorArgTypeES9_S9_EUllE_EEvNS0_6detail10TensorInfoIT_T1_EESF_NSC_IKS6_SE_EElS8_S8_SE_T6_,comdat
	.protected	_ZN2at4cuda17kernelHistogram1DIfflLi1ELi2ELin1ELNS0_23CUDAHistogramMemoryTypeE1EZNS0_21CUDA_tensor_histogramIffLb0EEEbNS_6TensorES4_S4_lNS_14AccumulateTypeIT0_Lb1EE4typeES8_NS0_13TensorArgTypeES9_S9_EUllE_EEvNS0_6detail10TensorInfoIT_T1_EESF_NSC_IKS6_SE_EElS8_S8_SE_T6_ ; -- Begin function _ZN2at4cuda17kernelHistogram1DIfflLi1ELi2ELin1ELNS0_23CUDAHistogramMemoryTypeE1EZNS0_21CUDA_tensor_histogramIffLb0EEEbNS_6TensorES4_S4_lNS_14AccumulateTypeIT0_Lb1EE4typeES8_NS0_13TensorArgTypeES9_S9_EUllE_EEvNS0_6detail10TensorInfoIT_T1_EESF_NSC_IKS6_SE_EElS8_S8_SE_T6_
	.globl	_ZN2at4cuda17kernelHistogram1DIfflLi1ELi2ELin1ELNS0_23CUDAHistogramMemoryTypeE1EZNS0_21CUDA_tensor_histogramIffLb0EEEbNS_6TensorES4_S4_lNS_14AccumulateTypeIT0_Lb1EE4typeES8_NS0_13TensorArgTypeES9_S9_EUllE_EEvNS0_6detail10TensorInfoIT_T1_EESF_NSC_IKS6_SE_EElS8_S8_SE_T6_
	.p2align	8
	.type	_ZN2at4cuda17kernelHistogram1DIfflLi1ELi2ELin1ELNS0_23CUDAHistogramMemoryTypeE1EZNS0_21CUDA_tensor_histogramIffLb0EEEbNS_6TensorES4_S4_lNS_14AccumulateTypeIT0_Lb1EE4typeES8_NS0_13TensorArgTypeES9_S9_EUllE_EEvNS0_6detail10TensorInfoIT_T1_EESF_NSC_IKS6_SE_EElS8_S8_SE_T6_,@function
_ZN2at4cuda17kernelHistogram1DIfflLi1ELi2ELin1ELNS0_23CUDAHistogramMemoryTypeE1EZNS0_21CUDA_tensor_histogramIffLb0EEEbNS_6TensorES4_S4_lNS_14AccumulateTypeIT0_Lb1EE4typeES8_NS0_13TensorArgTypeES9_S9_EUllE_EEvNS0_6detail10TensorInfoIT_T1_EESF_NSC_IKS6_SE_EElS8_S8_SE_T6_: ; @_ZN2at4cuda17kernelHistogram1DIfflLi1ELi2ELin1ELNS0_23CUDAHistogramMemoryTypeE1EZNS0_21CUDA_tensor_histogramIffLb0EEEbNS_6TensorES4_S4_lNS_14AccumulateTypeIT0_Lb1EE4typeES8_NS0_13TensorArgTypeES9_S9_EUllE_EEvNS0_6detail10TensorInfoIT_T1_EESF_NSC_IKS6_SE_EElS8_S8_SE_T6_
; %bb.0:
	s_load_dword s2, s[4:5], 0x6a4
	s_load_dwordx4 s[8:11], s[4:5], 0x4f0
	s_add_u32 s0, s4, 0x698
	s_addc_u32 s1, s5, 0
	v_mov_b32_e32 v2, 0
	s_waitcnt lgkmcnt(0)
	s_and_b32 s2, s2, 0xffff
	s_mul_i32 s6, s6, s2
	v_add_u32_e32 v0, s6, v0
	v_mov_b32_e32 v1, v2
	v_cmp_gt_i64_e32 vcc, s[8:9], v[0:1]
	s_and_saveexec_b64 s[6:7], vcc
	s_cbranch_execz .LBB81_12
; %bb.1:
	s_add_u32 s24, s4, 0x340
	s_addc_u32 s25, s5, 0
	s_load_dwordx4 s[12:15], s[4:5], 0x4e0
	s_load_dword s3, s[4:5], 0x4d8
	s_load_dwordx2 s[6:7], s[4:5], 0x0
	s_load_dwordx2 s[16:17], s[4:5], 0xd0
	;; [unrolled: 1-line block ×3, first 2 shown]
	s_load_dword s26, s[0:1], 0x0
	s_waitcnt lgkmcnt(0)
	s_cmp_gt_i32 s3, 1
	s_cselect_b64 s[0:1], -1, 0
	s_xor_b32 s21, s12, s13
	s_flbit_i32 s20, s13
	s_ashr_i32 s21, s21, 31
	s_add_i32 s20, s20, -1
	s_add_i32 s21, s21, 32
	s_min_u32 s27, s20, s21
	s_lshl_b64 s[20:21], s[12:13], s27
	s_min_u32 s20, s20, 1
	s_or_b32 s20, s21, s20
	v_cvt_f32_i32_e32 v3, s20
	s_mov_b32 s38, 0
	s_mul_i32 s33, s26, s2
	s_add_i32 s39, s3, 1
	s_add_i32 s2, s3, -1
	s_mov_b32 s3, s38
	s_load_dwordx2 s[20:21], s[4:5], 0x410
	s_load_dwordx2 s[22:23], s[4:5], 0x340
	s_sub_i32 s4, 32, s27
	s_lshl_b64 s[2:3], s[2:3], 3
	s_add_u32 s2, s2, s24
	v_ldexp_f32 v10, v3, s4
	v_mov_b32_e32 v3, s14
	s_addc_u32 s3, s3, s25
	v_sub_f32_e32 v11, s15, v3
	s_add_u32 s4, s2, 8
	v_cndmask_b32_e64 v3, 0, 1, s[0:1]
	s_addc_u32 s5, s3, 0
	s_mov_b64 s[24:25], 0
	v_cmp_ne_u32_e64 s[0:1], 1, v3
	s_branch .LBB81_3
.LBB81_2:                               ;   in Loop: Header=BB81_3 Depth=1
	s_or_b64 exec, exec, s[2:3]
	v_mov_b32_e32 v3, s38
	v_add_co_u32_e32 v0, vcc, s33, v0
	v_addc_co_u32_e32 v1, vcc, v1, v3, vcc
	v_cmp_le_i64_e32 vcc, s[8:9], v[0:1]
	s_or_b64 s[24:25], vcc, s[24:25]
	s_andn2_b64 exec, exec, s[24:25]
	s_cbranch_execz .LBB81_12
.LBB81_3:                               ; =>This Loop Header: Depth=1
                                        ;     Child Loop BB81_4 Depth 2
	s_and_b64 vcc, exec, s[0:1]
	v_pk_mov_b32 v[4:5], 0, 0
	s_mov_b64 s[26:27], s[4:5]
	s_mov_b32 s40, s39
	v_pk_mov_b32 v[6:7], v[0:1], v[0:1] op_sel:[0,1]
	v_pk_mov_b32 v[8:9], v[0:1], v[0:1] op_sel:[0,1]
	s_cbranch_vccnz .LBB81_10
.LBB81_4:                               ;   Parent Loop BB81_3 Depth=1
                                        ; =>  This Inner Loop Header: Depth=2
	s_load_dwordx2 s[28:29], s[26:27], 0x0
                                        ; implicit-def: $vgpr8_vgpr9
	s_waitcnt lgkmcnt(0)
	v_or_b32_e32 v3, s29, v7
	v_cmp_ne_u64_e32 vcc, 0, v[2:3]
	s_and_saveexec_b64 s[2:3], vcc
	s_xor_b64 s[30:31], exec, s[2:3]
	s_cbranch_execz .LBB81_6
; %bb.5:                                ;   in Loop: Header=BB81_4 Depth=2
	s_ashr_i32 s34, s29, 31
	s_add_u32 s2, s28, s34
	s_mov_b32 s35, s34
	s_addc_u32 s3, s29, s34
	s_xor_b64 s[36:37], s[2:3], s[34:35]
	v_cvt_f32_u32_e32 v3, s36
	v_cvt_f32_u32_e32 v8, s37
	s_sub_u32 s2, 0, s36
	s_subb_u32 s3, 0, s37
	v_mac_f32_e32 v3, 0x4f800000, v8
	v_rcp_f32_e32 v3, v3
	v_mul_f32_e32 v3, 0x5f7ffffc, v3
	v_mul_f32_e32 v8, 0x2f800000, v3
	v_trunc_f32_e32 v8, v8
	v_mac_f32_e32 v3, 0xcf800000, v8
	v_cvt_u32_f32_e32 v8, v8
	v_cvt_u32_f32_e32 v3, v3
	v_mul_lo_u32 v9, s2, v8
	v_mul_hi_u32 v13, s2, v3
	v_mul_lo_u32 v12, s3, v3
	v_add_u32_e32 v9, v13, v9
	v_mul_lo_u32 v14, s2, v3
	v_add_u32_e32 v9, v9, v12
	v_mul_lo_u32 v13, v3, v9
	v_mul_hi_u32 v15, v3, v14
	v_mul_hi_u32 v12, v3, v9
	v_add_co_u32_e32 v13, vcc, v15, v13
	v_addc_co_u32_e32 v12, vcc, 0, v12, vcc
	v_mul_hi_u32 v16, v8, v14
	v_mul_lo_u32 v14, v8, v14
	v_add_co_u32_e32 v13, vcc, v13, v14
	v_mul_hi_u32 v15, v8, v9
	v_addc_co_u32_e32 v12, vcc, v12, v16, vcc
	v_addc_co_u32_e32 v13, vcc, 0, v15, vcc
	v_mul_lo_u32 v9, v8, v9
	v_add_co_u32_e32 v9, vcc, v12, v9
	v_addc_co_u32_e32 v12, vcc, 0, v13, vcc
	v_add_co_u32_e32 v3, vcc, v3, v9
	v_addc_co_u32_e32 v8, vcc, v8, v12, vcc
	v_mul_lo_u32 v9, s2, v8
	v_mul_hi_u32 v12, s2, v3
	v_add_u32_e32 v9, v12, v9
	v_mul_lo_u32 v12, s3, v3
	v_add_u32_e32 v9, v9, v12
	v_mul_lo_u32 v13, s2, v3
	v_mul_hi_u32 v14, v8, v13
	v_mul_lo_u32 v15, v8, v13
	v_mul_lo_u32 v17, v3, v9
	v_mul_hi_u32 v13, v3, v13
	v_mul_hi_u32 v16, v3, v9
	v_add_co_u32_e32 v13, vcc, v13, v17
	v_addc_co_u32_e32 v16, vcc, 0, v16, vcc
	v_add_co_u32_e32 v13, vcc, v13, v15
	v_mul_hi_u32 v12, v8, v9
	v_addc_co_u32_e32 v13, vcc, v16, v14, vcc
	v_addc_co_u32_e32 v12, vcc, 0, v12, vcc
	v_mul_lo_u32 v9, v8, v9
	v_add_co_u32_e32 v9, vcc, v13, v9
	v_addc_co_u32_e32 v12, vcc, 0, v12, vcc
	v_add_co_u32_e32 v3, vcc, v3, v9
	v_addc_co_u32_e32 v12, vcc, v8, v12, vcc
	v_ashrrev_i32_e32 v14, 31, v7
	v_add_co_u32_e32 v8, vcc, v6, v14
	v_addc_co_u32_e32 v9, vcc, v7, v14, vcc
	v_xor_b32_e32 v16, v8, v14
	v_xor_b32_e32 v15, v9, v14
	v_mad_u64_u32 v[8:9], s[2:3], v16, v12, 0
	v_mul_hi_u32 v13, v16, v3
	v_add_co_u32_e32 v17, vcc, v13, v8
	v_addc_co_u32_e32 v18, vcc, 0, v9, vcc
	v_mad_u64_u32 v[8:9], s[2:3], v15, v12, 0
	v_mad_u64_u32 v[12:13], s[2:3], v15, v3, 0
	v_add_co_u32_e32 v3, vcc, v17, v12
	v_addc_co_u32_e32 v3, vcc, v18, v13, vcc
	v_addc_co_u32_e32 v9, vcc, 0, v9, vcc
	v_add_co_u32_e32 v3, vcc, v3, v8
	v_addc_co_u32_e32 v12, vcc, 0, v9, vcc
	v_mul_lo_u32 v13, s37, v3
	v_mul_lo_u32 v17, s36, v12
	v_mad_u64_u32 v[8:9], s[2:3], s36, v3, 0
	v_add3_u32 v9, v9, v17, v13
	v_sub_u32_e32 v13, v15, v9
	v_mov_b32_e32 v17, s37
	v_sub_co_u32_e32 v8, vcc, v16, v8
	v_subb_co_u32_e64 v13, s[2:3], v13, v17, vcc
	v_subrev_co_u32_e64 v16, s[2:3], s36, v8
	v_subbrev_co_u32_e64 v13, s[2:3], 0, v13, s[2:3]
	v_cmp_le_u32_e64 s[2:3], s37, v13
	v_cndmask_b32_e64 v17, 0, -1, s[2:3]
	v_cmp_le_u32_e64 s[2:3], s36, v16
	v_cndmask_b32_e64 v16, 0, -1, s[2:3]
	v_cmp_eq_u32_e64 s[2:3], s37, v13
	v_cndmask_b32_e64 v13, v17, v16, s[2:3]
	v_add_co_u32_e64 v16, s[2:3], 2, v3
	v_subb_co_u32_e32 v9, vcc, v15, v9, vcc
	v_addc_co_u32_e64 v17, s[2:3], 0, v12, s[2:3]
	v_cmp_le_u32_e32 vcc, s37, v9
	v_add_co_u32_e64 v18, s[2:3], 1, v3
	v_cndmask_b32_e64 v15, 0, -1, vcc
	v_cmp_le_u32_e32 vcc, s36, v8
	v_addc_co_u32_e64 v19, s[2:3], 0, v12, s[2:3]
	v_cndmask_b32_e64 v8, 0, -1, vcc
	v_cmp_eq_u32_e32 vcc, s37, v9
	v_cmp_ne_u32_e64 s[2:3], 0, v13
	v_cndmask_b32_e32 v8, v15, v8, vcc
	v_cmp_ne_u32_e32 vcc, 0, v8
	v_cndmask_b32_e64 v9, v18, v16, s[2:3]
	v_cndmask_b32_e64 v13, v19, v17, s[2:3]
	v_cndmask_b32_e32 v3, v3, v9, vcc
	v_xor_b32_e32 v9, s34, v14
	v_cndmask_b32_e32 v8, v12, v13, vcc
	v_xor_b32_e32 v3, v3, v9
	v_xor_b32_e32 v12, v8, v9
	v_sub_co_u32_e32 v8, vcc, v3, v9
	v_subb_co_u32_e32 v9, vcc, v12, v9, vcc
.LBB81_6:                               ;   in Loop: Header=BB81_4 Depth=2
	s_andn2_saveexec_b64 s[2:3], s[30:31]
	s_cbranch_execz .LBB81_8
; %bb.7:                                ;   in Loop: Header=BB81_4 Depth=2
	v_cvt_f32_u32_e32 v3, s28
	s_sub_i32 s30, 0, s28
	v_rcp_iflag_f32_e32 v3, v3
	v_mul_f32_e32 v3, 0x4f7ffffe, v3
	v_cvt_u32_f32_e32 v3, v3
	v_mul_lo_u32 v8, s30, v3
	v_mul_hi_u32 v8, v3, v8
	v_add_u32_e32 v3, v3, v8
	v_mul_hi_u32 v3, v6, v3
	v_mul_lo_u32 v8, v3, s28
	v_sub_u32_e32 v8, v6, v8
	v_add_u32_e32 v9, 1, v3
	v_subrev_u32_e32 v12, s28, v8
	v_cmp_le_u32_e32 vcc, s28, v8
	v_cndmask_b32_e32 v8, v8, v12, vcc
	v_cndmask_b32_e32 v3, v3, v9, vcc
	v_add_u32_e32 v9, 1, v3
	v_cmp_le_u32_e32 vcc, s28, v8
	v_cndmask_b32_e32 v8, v3, v9, vcc
	v_mov_b32_e32 v9, v2
.LBB81_8:                               ;   in Loop: Header=BB81_4 Depth=2
	s_or_b64 exec, exec, s[2:3]
	v_mad_u64_u32 v[12:13], s[2:3], v8, s28, 0
	s_load_dwordx2 s[2:3], s[26:27], 0xc8
	v_mul_lo_u32 v3, v9, s28
	v_mul_lo_u32 v14, v8, s29
	v_add3_u32 v3, v13, v14, v3
	v_sub_co_u32_e32 v6, vcc, v6, v12
	s_add_i32 s40, s40, -1
	v_subb_co_u32_e32 v3, vcc, v7, v3, vcc
	s_add_u32 s26, s26, -8
	s_waitcnt lgkmcnt(0)
	v_mul_lo_u32 v3, s2, v3
	v_mul_lo_u32 v7, s3, v6
	v_mad_u64_u32 v[4:5], s[2:3], s2, v6, v[4:5]
	s_addc_u32 s27, s27, -1
	s_cmp_gt_u32 s40, 2
	v_add3_u32 v5, v7, v5, v3
	s_cbranch_scc0 .LBB81_10
; %bb.9:                                ;   in Loop: Header=BB81_4 Depth=2
	v_pk_mov_b32 v[6:7], v[8:9], v[8:9] op_sel:[0,1]
	s_branch .LBB81_4
.LBB81_10:                              ;   in Loop: Header=BB81_3 Depth=1
	s_waitcnt lgkmcnt(0)
	v_mul_lo_u32 v3, s21, v8
	v_mul_lo_u32 v9, s20, v9
	v_mad_u64_u32 v[6:7], s[2:3], s20, v8, 0
	v_add3_u32 v7, v7, v9, v3
	v_lshlrev_b64 v[6:7], 2, v[6:7]
	v_mov_b32_e32 v3, s23
	v_add_co_u32_e32 v6, vcc, s22, v6
	v_addc_co_u32_e32 v3, vcc, v3, v7, vcc
	v_lshlrev_b64 v[4:5], 2, v[4:5]
	v_add_co_u32_e32 v4, vcc, v6, v4
	v_addc_co_u32_e32 v5, vcc, v3, v5, vcc
	global_load_dword v3, v[4:5], off
	s_waitcnt vmcnt(0)
	v_cmp_le_f32_e32 vcc, s14, v3
	v_cmp_ge_f32_e64 s[2:3], s15, v3
	s_and_b64 s[26:27], vcc, s[2:3]
	s_and_saveexec_b64 s[2:3], s[26:27]
	s_cbranch_execz .LBB81_2
; %bb.11:                               ;   in Loop: Header=BB81_3 Depth=1
	v_mul_lo_u32 v6, v1, s18
	v_mul_lo_u32 v7, v0, s19
	v_mad_u64_u32 v[4:5], s[26:27], v0, s18, 0
	v_add3_u32 v5, v5, v7, v6
	v_lshlrev_b64 v[4:5], 2, v[4:5]
	v_mov_b32_e32 v6, s11
	v_add_co_u32_e32 v4, vcc, s10, v4
	v_addc_co_u32_e32 v5, vcc, v6, v5, vcc
	global_load_dword v6, v[4:5], off
	v_subrev_f32_e32 v3, s14, v3
	v_mul_f32_e32 v3, v3, v10
	v_div_scale_f32 v4, s[26:27], v11, v11, v3
	v_rcp_f32_e32 v5, v4
	v_fma_f32 v7, -v4, v5, 1.0
	v_fmac_f32_e32 v5, v7, v5
	v_div_scale_f32 v7, vcc, v3, v11, v3
	v_mul_f32_e32 v8, v7, v5
	v_fma_f32 v9, -v4, v8, v7
	v_fmac_f32_e32 v8, v9, v5
	v_fma_f32 v4, -v4, v8, v7
	v_div_fmas_f32 v4, v4, v5, v8
	v_div_fixup_f32 v3, v4, v11, v3
	v_cvt_i32_f32_e32 v4, v3
	v_ashrrev_i32_e32 v5, 31, v4
	v_cmp_eq_u64_e32 vcc, s[12:13], v[4:5]
	v_cndmask_b32_e64 v3, 0, 1, vcc
	v_sub_co_u32_e32 v3, vcc, v4, v3
	v_subbrev_co_u32_e32 v4, vcc, 0, v5, vcc
	v_mul_lo_u32 v7, v4, s16
	v_mul_lo_u32 v8, v3, s17
	v_mad_u64_u32 v[4:5], s[26:27], v3, s16, 0
	v_add3_u32 v5, v5, v8, v7
	v_lshlrev_b64 v[4:5], 2, v[4:5]
	v_mov_b32_e32 v3, s7
	v_add_co_u32_e32 v4, vcc, s6, v4
	v_addc_co_u32_e32 v5, vcc, v3, v5, vcc
	s_waitcnt vmcnt(0)
	global_atomic_add_f32 v[4:5], v6, off
	s_branch .LBB81_2
.LBB81_12:
	s_endpgm
	.section	.rodata,"a",@progbits
	.p2align	6, 0x0
	.amdhsa_kernel _ZN2at4cuda17kernelHistogram1DIfflLi1ELi2ELin1ELNS0_23CUDAHistogramMemoryTypeE1EZNS0_21CUDA_tensor_histogramIffLb0EEEbNS_6TensorES4_S4_lNS_14AccumulateTypeIT0_Lb1EE4typeES8_NS0_13TensorArgTypeES9_S9_EUllE_EEvNS0_6detail10TensorInfoIT_T1_EESF_NSC_IKS6_SE_EElS8_S8_SE_T6_
		.amdhsa_group_segment_fixed_size 0
		.amdhsa_private_segment_fixed_size 0
		.amdhsa_kernarg_size 1944
		.amdhsa_user_sgpr_count 6
		.amdhsa_user_sgpr_private_segment_buffer 1
		.amdhsa_user_sgpr_dispatch_ptr 0
		.amdhsa_user_sgpr_queue_ptr 0
		.amdhsa_user_sgpr_kernarg_segment_ptr 1
		.amdhsa_user_sgpr_dispatch_id 0
		.amdhsa_user_sgpr_flat_scratch_init 0
		.amdhsa_user_sgpr_kernarg_preload_length 0
		.amdhsa_user_sgpr_kernarg_preload_offset 0
		.amdhsa_user_sgpr_private_segment_size 0
		.amdhsa_uses_dynamic_stack 0
		.amdhsa_system_sgpr_private_segment_wavefront_offset 0
		.amdhsa_system_sgpr_workgroup_id_x 1
		.amdhsa_system_sgpr_workgroup_id_y 0
		.amdhsa_system_sgpr_workgroup_id_z 0
		.amdhsa_system_sgpr_workgroup_info 0
		.amdhsa_system_vgpr_workitem_id 0
		.amdhsa_next_free_vgpr 20
		.amdhsa_next_free_sgpr 41
		.amdhsa_accum_offset 20
		.amdhsa_reserve_vcc 1
		.amdhsa_reserve_flat_scratch 0
		.amdhsa_float_round_mode_32 0
		.amdhsa_float_round_mode_16_64 0
		.amdhsa_float_denorm_mode_32 3
		.amdhsa_float_denorm_mode_16_64 3
		.amdhsa_dx10_clamp 1
		.amdhsa_ieee_mode 1
		.amdhsa_fp16_overflow 0
		.amdhsa_tg_split 0
		.amdhsa_exception_fp_ieee_invalid_op 0
		.amdhsa_exception_fp_denorm_src 0
		.amdhsa_exception_fp_ieee_div_zero 0
		.amdhsa_exception_fp_ieee_overflow 0
		.amdhsa_exception_fp_ieee_underflow 0
		.amdhsa_exception_fp_ieee_inexact 0
		.amdhsa_exception_int_div_zero 0
	.end_amdhsa_kernel
	.section	.text._ZN2at4cuda17kernelHistogram1DIfflLi1ELi2ELin1ELNS0_23CUDAHistogramMemoryTypeE1EZNS0_21CUDA_tensor_histogramIffLb0EEEbNS_6TensorES4_S4_lNS_14AccumulateTypeIT0_Lb1EE4typeES8_NS0_13TensorArgTypeES9_S9_EUllE_EEvNS0_6detail10TensorInfoIT_T1_EESF_NSC_IKS6_SE_EElS8_S8_SE_T6_,"axG",@progbits,_ZN2at4cuda17kernelHistogram1DIfflLi1ELi2ELin1ELNS0_23CUDAHistogramMemoryTypeE1EZNS0_21CUDA_tensor_histogramIffLb0EEEbNS_6TensorES4_S4_lNS_14AccumulateTypeIT0_Lb1EE4typeES8_NS0_13TensorArgTypeES9_S9_EUllE_EEvNS0_6detail10TensorInfoIT_T1_EESF_NSC_IKS6_SE_EElS8_S8_SE_T6_,comdat
.Lfunc_end81:
	.size	_ZN2at4cuda17kernelHistogram1DIfflLi1ELi2ELin1ELNS0_23CUDAHistogramMemoryTypeE1EZNS0_21CUDA_tensor_histogramIffLb0EEEbNS_6TensorES4_S4_lNS_14AccumulateTypeIT0_Lb1EE4typeES8_NS0_13TensorArgTypeES9_S9_EUllE_EEvNS0_6detail10TensorInfoIT_T1_EESF_NSC_IKS6_SE_EElS8_S8_SE_T6_, .Lfunc_end81-_ZN2at4cuda17kernelHistogram1DIfflLi1ELi2ELin1ELNS0_23CUDAHistogramMemoryTypeE1EZNS0_21CUDA_tensor_histogramIffLb0EEEbNS_6TensorES4_S4_lNS_14AccumulateTypeIT0_Lb1EE4typeES8_NS0_13TensorArgTypeES9_S9_EUllE_EEvNS0_6detail10TensorInfoIT_T1_EESF_NSC_IKS6_SE_EElS8_S8_SE_T6_
                                        ; -- End function
	.section	.AMDGPU.csdata,"",@progbits
; Kernel info:
; codeLenInByte = 1628
; NumSgprs: 45
; NumVgprs: 20
; NumAgprs: 0
; TotalNumVgprs: 20
; ScratchSize: 0
; MemoryBound: 0
; FloatMode: 240
; IeeeMode: 1
; LDSByteSize: 0 bytes/workgroup (compile time only)
; SGPRBlocks: 5
; VGPRBlocks: 2
; NumSGPRsForWavesPerEU: 45
; NumVGPRsForWavesPerEU: 20
; AccumOffset: 20
; Occupancy: 8
; WaveLimiterHint : 1
; COMPUTE_PGM_RSRC2:SCRATCH_EN: 0
; COMPUTE_PGM_RSRC2:USER_SGPR: 6
; COMPUTE_PGM_RSRC2:TRAP_HANDLER: 0
; COMPUTE_PGM_RSRC2:TGID_X_EN: 1
; COMPUTE_PGM_RSRC2:TGID_Y_EN: 0
; COMPUTE_PGM_RSRC2:TGID_Z_EN: 0
; COMPUTE_PGM_RSRC2:TIDIG_COMP_CNT: 0
; COMPUTE_PGM_RSRC3_GFX90A:ACCUM_OFFSET: 4
; COMPUTE_PGM_RSRC3_GFX90A:TG_SPLIT: 0
	.section	.text._ZN2at4cuda17kernelHistogram1DIfflLi1ELi2ELin1ELNS0_23CUDAHistogramMemoryTypeE0EZNS0_21CUDA_tensor_histogramIffLb0EEEbNS_6TensorES4_S4_lNS_14AccumulateTypeIT0_Lb1EE4typeES8_NS0_13TensorArgTypeES9_S9_EUllE0_EEvNS0_6detail10TensorInfoIT_T1_EESF_NSC_IKS6_SE_EElS8_S8_SE_T6_,"axG",@progbits,_ZN2at4cuda17kernelHistogram1DIfflLi1ELi2ELin1ELNS0_23CUDAHistogramMemoryTypeE0EZNS0_21CUDA_tensor_histogramIffLb0EEEbNS_6TensorES4_S4_lNS_14AccumulateTypeIT0_Lb1EE4typeES8_NS0_13TensorArgTypeES9_S9_EUllE0_EEvNS0_6detail10TensorInfoIT_T1_EESF_NSC_IKS6_SE_EElS8_S8_SE_T6_,comdat
	.protected	_ZN2at4cuda17kernelHistogram1DIfflLi1ELi2ELin1ELNS0_23CUDAHistogramMemoryTypeE0EZNS0_21CUDA_tensor_histogramIffLb0EEEbNS_6TensorES4_S4_lNS_14AccumulateTypeIT0_Lb1EE4typeES8_NS0_13TensorArgTypeES9_S9_EUllE0_EEvNS0_6detail10TensorInfoIT_T1_EESF_NSC_IKS6_SE_EElS8_S8_SE_T6_ ; -- Begin function _ZN2at4cuda17kernelHistogram1DIfflLi1ELi2ELin1ELNS0_23CUDAHistogramMemoryTypeE0EZNS0_21CUDA_tensor_histogramIffLb0EEEbNS_6TensorES4_S4_lNS_14AccumulateTypeIT0_Lb1EE4typeES8_NS0_13TensorArgTypeES9_S9_EUllE0_EEvNS0_6detail10TensorInfoIT_T1_EESF_NSC_IKS6_SE_EElS8_S8_SE_T6_
	.globl	_ZN2at4cuda17kernelHistogram1DIfflLi1ELi2ELin1ELNS0_23CUDAHistogramMemoryTypeE0EZNS0_21CUDA_tensor_histogramIffLb0EEEbNS_6TensorES4_S4_lNS_14AccumulateTypeIT0_Lb1EE4typeES8_NS0_13TensorArgTypeES9_S9_EUllE0_EEvNS0_6detail10TensorInfoIT_T1_EESF_NSC_IKS6_SE_EElS8_S8_SE_T6_
	.p2align	8
	.type	_ZN2at4cuda17kernelHistogram1DIfflLi1ELi2ELin1ELNS0_23CUDAHistogramMemoryTypeE0EZNS0_21CUDA_tensor_histogramIffLb0EEEbNS_6TensorES4_S4_lNS_14AccumulateTypeIT0_Lb1EE4typeES8_NS0_13TensorArgTypeES9_S9_EUllE0_EEvNS0_6detail10TensorInfoIT_T1_EESF_NSC_IKS6_SE_EElS8_S8_SE_T6_,@function
_ZN2at4cuda17kernelHistogram1DIfflLi1ELi2ELin1ELNS0_23CUDAHistogramMemoryTypeE0EZNS0_21CUDA_tensor_histogramIffLb0EEEbNS_6TensorES4_S4_lNS_14AccumulateTypeIT0_Lb1EE4typeES8_NS0_13TensorArgTypeES9_S9_EUllE0_EEvNS0_6detail10TensorInfoIT_T1_EESF_NSC_IKS6_SE_EElS8_S8_SE_T6_: ; @_ZN2at4cuda17kernelHistogram1DIfflLi1ELi2ELin1ELNS0_23CUDAHistogramMemoryTypeE0EZNS0_21CUDA_tensor_histogramIffLb0EEEbNS_6TensorES4_S4_lNS_14AccumulateTypeIT0_Lb1EE4typeES8_NS0_13TensorArgTypeES9_S9_EUllE0_EEvNS0_6detail10TensorInfoIT_T1_EESF_NSC_IKS6_SE_EElS8_S8_SE_T6_
; %bb.0:
	s_load_dwordx4 s[8:11], s[4:5], 0x0
	v_mov_b32_e32 v1, 0
	s_add_u32 s18, s4, 0x500
	s_addc_u32 s19, s5, 0
                                        ; implicit-def: $sgpr7
	s_waitcnt lgkmcnt(0)
	v_cmp_gt_i64_e64 s[0:1], s[10:11], v[0:1]
	v_cmp_le_i64_e32 vcc, s[10:11], v[0:1]
	s_and_saveexec_b64 s[2:3], vcc
	s_xor_b64 s[2:3], exec, s[2:3]
	s_cbranch_execz .LBB82_2
; %bb.1:
	s_load_dword s7, s[18:19], 0xc
.LBB82_2:
	s_or_saveexec_b64 s[12:13], s[2:3]
	s_load_dwordx2 s[16:17], s[4:5], 0xd0
	s_waitcnt lgkmcnt(0)
	v_mov_b32_e32 v4, s7
	s_xor_b64 exec, exec, s[12:13]
	s_cbranch_execz .LBB82_16
; %bb.3:
	s_load_dword s7, s[18:19], 0xc
	v_mov_b32_e32 v2, s11
	s_mov_b32 s21, 0
	s_waitcnt lgkmcnt(0)
	s_and_b32 s20, s7, 0xffff
	v_add_co_u32_e32 v4, vcc, s20, v0
	v_addc_co_u32_e64 v5, s[2:3], 0, 0, vcc
	v_cmp_gt_i64_e32 vcc, s[10:11], v[4:5]
	v_cndmask_b32_e32 v6, v5, v2, vcc
	v_mov_b32_e32 v2, s10
	v_cndmask_b32_e32 v3, v4, v2, vcc
	v_cndmask_b32_e64 v2, 0, 1, vcc
	v_add_co_u32_e32 v4, vcc, v4, v2
	v_addc_co_u32_e32 v5, vcc, 0, v5, vcc
	v_sub_co_u32_e32 v3, vcc, v3, v4
	v_subb_co_u32_e32 v5, vcc, v6, v5, vcc
	v_mov_b32_e32 v4, 0
	v_cmp_ne_u64_e32 vcc, 0, v[4:5]
                                        ; implicit-def: $vgpr6_vgpr7
	s_and_saveexec_b64 s[2:3], vcc
	s_xor_b64 s[14:15], exec, s[2:3]
	s_cbranch_execz .LBB82_5
; %bb.4:
	v_cvt_f32_u32_e32 v4, s20
	v_mov_b32_e32 v6, 0x4f800000
	s_sub_u32 s2, 0, s20
	s_subb_u32 s3, 0, 0
	v_mac_f32_e32 v4, 0, v6
	v_rcp_f32_e32 v4, v4
	v_mul_f32_e32 v4, 0x5f7ffffc, v4
	v_mul_f32_e32 v6, 0x2f800000, v4
	v_trunc_f32_e32 v6, v6
	v_madmk_f32 v4, v6, 0xcf800000, v4
	v_cvt_u32_f32_e32 v6, v6
	v_cvt_u32_f32_e32 v4, v4
	v_mul_lo_u32 v7, s2, v6
	v_mul_hi_u32 v9, s2, v4
	v_mul_lo_u32 v8, s3, v4
	v_add_u32_e32 v7, v9, v7
	v_mul_lo_u32 v10, s2, v4
	v_add_u32_e32 v7, v7, v8
	v_mul_hi_u32 v9, v4, v10
	v_mul_lo_u32 v11, v4, v7
	v_mul_hi_u32 v8, v4, v7
	v_add_co_u32_e32 v9, vcc, v9, v11
	v_addc_co_u32_e32 v8, vcc, 0, v8, vcc
	v_mul_hi_u32 v12, v6, v10
	v_mul_lo_u32 v10, v6, v10
	v_add_co_u32_e32 v9, vcc, v9, v10
	v_mul_hi_u32 v11, v6, v7
	v_addc_co_u32_e32 v8, vcc, v8, v12, vcc
	v_addc_co_u32_e32 v9, vcc, 0, v11, vcc
	v_mul_lo_u32 v7, v6, v7
	v_add_co_u32_e32 v7, vcc, v8, v7
	v_addc_co_u32_e32 v8, vcc, 0, v9, vcc
	v_add_co_u32_e32 v4, vcc, v4, v7
	v_addc_co_u32_e32 v6, vcc, v6, v8, vcc
	v_mul_lo_u32 v7, s2, v6
	v_mul_hi_u32 v8, s2, v4
	v_add_u32_e32 v7, v8, v7
	v_mul_lo_u32 v8, s3, v4
	v_add_u32_e32 v7, v7, v8
	v_mul_lo_u32 v9, s2, v4
	v_mul_hi_u32 v10, v6, v9
	v_mul_lo_u32 v11, v6, v9
	v_mul_lo_u32 v13, v4, v7
	v_mul_hi_u32 v9, v4, v9
	v_mul_hi_u32 v12, v4, v7
	v_add_co_u32_e32 v9, vcc, v9, v13
	v_addc_co_u32_e32 v12, vcc, 0, v12, vcc
	v_add_co_u32_e32 v9, vcc, v9, v11
	v_mul_hi_u32 v8, v6, v7
	v_addc_co_u32_e32 v9, vcc, v12, v10, vcc
	v_addc_co_u32_e32 v8, vcc, 0, v8, vcc
	v_mul_lo_u32 v7, v6, v7
	v_add_co_u32_e32 v7, vcc, v9, v7
	v_addc_co_u32_e32 v8, vcc, 0, v8, vcc
	v_add_co_u32_e32 v4, vcc, v4, v7
	v_addc_co_u32_e32 v8, vcc, v6, v8, vcc
	v_mad_u64_u32 v[6:7], s[2:3], v3, v8, 0
	v_mul_hi_u32 v9, v3, v4
	v_add_co_u32_e32 v10, vcc, v9, v6
	v_addc_co_u32_e32 v11, vcc, 0, v7, vcc
	v_mad_u64_u32 v[6:7], s[2:3], v5, v8, 0
	v_mad_u64_u32 v[8:9], s[2:3], v5, v4, 0
	v_add_co_u32_e32 v4, vcc, v10, v8
	v_addc_co_u32_e32 v4, vcc, v11, v9, vcc
	v_addc_co_u32_e32 v7, vcc, 0, v7, vcc
	v_add_co_u32_e32 v10, vcc, v4, v6
	v_addc_co_u32_e32 v11, vcc, 0, v7, vcc
	v_mad_u64_u32 v[6:7], s[2:3], s20, v10, 0
	v_mov_b32_e32 v4, v7
	v_mad_u64_u32 v[8:9], s[2:3], s20, v11, v[4:5]
	v_sub_co_u32_e32 v3, vcc, v3, v6
	v_subb_co_u32_e32 v4, vcc, v5, v8, vcc
	v_subrev_co_u32_e32 v5, vcc, s20, v3
	v_subbrev_co_u32_e32 v6, vcc, 0, v4, vcc
	v_cmp_le_u32_e32 vcc, s20, v5
	v_cndmask_b32_e64 v5, 0, -1, vcc
	v_cmp_eq_u32_e32 vcc, 0, v6
	v_cndmask_b32_e32 v5, -1, v5, vcc
	v_add_co_u32_e32 v6, vcc, 2, v10
	v_addc_co_u32_e32 v7, vcc, 0, v11, vcc
	v_add_co_u32_e32 v8, vcc, 1, v10
	v_cmp_le_u32_e64 s[2:3], s20, v3
	v_addc_co_u32_e32 v9, vcc, 0, v11, vcc
	v_cndmask_b32_e64 v3, 0, -1, s[2:3]
	v_cmp_eq_u32_e64 s[2:3], 0, v4
	v_cmp_ne_u32_e32 vcc, 0, v5
	v_cndmask_b32_e64 v3, -1, v3, s[2:3]
	v_cndmask_b32_e32 v5, v9, v7, vcc
	v_cmp_ne_u32_e64 s[2:3], 0, v3
	v_cndmask_b32_e32 v3, v8, v6, vcc
	v_cndmask_b32_e64 v7, v11, v5, s[2:3]
	v_cndmask_b32_e64 v6, v10, v3, s[2:3]
                                        ; implicit-def: $vgpr3
.LBB82_5:
	s_andn2_saveexec_b64 s[2:3], s[14:15]
	s_cbranch_execz .LBB82_7
; %bb.6:
	v_cvt_f32_u32_e32 v4, s20
	s_sub_i32 s14, 0, s20
	v_mov_b32_e32 v7, 0
	v_rcp_iflag_f32_e32 v4, v4
	v_mul_f32_e32 v4, 0x4f7ffffe, v4
	v_cvt_u32_f32_e32 v4, v4
	v_mul_lo_u32 v5, s14, v4
	v_mul_hi_u32 v5, v4, v5
	v_add_u32_e32 v4, v4, v5
	v_mul_hi_u32 v4, v3, v4
	v_mul_lo_u32 v5, v4, s20
	v_sub_u32_e32 v3, v3, v5
	v_add_u32_e32 v6, 1, v4
	v_subrev_u32_e32 v5, s20, v3
	v_cmp_le_u32_e32 vcc, s20, v3
	v_cndmask_b32_e32 v3, v3, v5, vcc
	v_cndmask_b32_e32 v4, v4, v6, vcc
	v_add_u32_e32 v5, 1, v4
	v_cmp_le_u32_e32 vcc, s20, v3
	v_cndmask_b32_e32 v6, v4, v5, vcc
.LBB82_7:
	s_or_b64 exec, exec, s[2:3]
	v_add_co_u32_e32 v2, vcc, v6, v2
	v_addc_co_u32_e32 v3, vcc, 0, v7, vcc
	v_add_co_u32_e32 v4, vcc, 1, v2
	v_addc_co_u32_e32 v5, vcc, 0, v3, vcc
	v_cmp_lt_u64_e32 vcc, 1, v[4:5]
	v_cmp_eq_u16_e64 s[2:3], s7, 1
	s_and_b64 s[24:25], vcc, s[2:3]
	s_mov_b64 s[14:15], -1
	v_pk_mov_b32 v[2:3], v[0:1], v[0:1] op_sel:[0,1]
                                        ; implicit-def: $sgpr22
	s_and_saveexec_b64 s[2:3], s[24:25]
	s_cbranch_execz .LBB82_11
; %bb.8:
	v_and_b32_e32 v6, -2, v4
	v_mov_b32_e32 v7, v5
	v_lshl_add_u32 v8, v0, 2, 0
	s_mov_b64 s[14:15], 0
	v_mov_b32_e32 v9, 0
	v_pk_mov_b32 v[2:3], v[6:7], v[6:7] op_sel:[0,1]
.LBB82_9:                               ; =>This Inner Loop Header: Depth=1
	v_add_co_u32_e32 v2, vcc, -2, v2
	v_addc_co_u32_e32 v3, vcc, -1, v3, vcc
	v_cmp_eq_u64_e32 vcc, 0, v[2:3]
	ds_write2_b32 v8, v9, v9 offset1:1
	s_or_b64 s[14:15], vcc, s[14:15]
	v_add_u32_e32 v8, 8, v8
	s_andn2_b64 exec, exec, s[14:15]
	s_cbranch_execnz .LBB82_9
; %bb.10:
	s_or_b64 exec, exec, s[14:15]
	v_mad_u64_u32 v[2:3], s[14:15], v6, s20, v[0:1]
	v_mov_b32_e32 v8, v3
	v_mad_u64_u32 v[8:9], s[14:15], v7, s20, v[8:9]
	v_cmp_ne_u64_e32 vcc, v[4:5], v[6:7]
	v_mov_b32_e32 v3, v8
	s_mov_b32 s22, 1
	s_orn2_b64 s[14:15], vcc, exec
.LBB82_11:
	s_or_b64 exec, exec, s[2:3]
	v_mov_b32_e32 v4, s22
	s_and_saveexec_b64 s[2:3], s[14:15]
	s_cbranch_execz .LBB82_15
; %bb.12:
	v_lshl_add_u32 v4, v2, 2, 0
	s_lshl_b32 s22, s20, 2
	s_mov_b64 s[14:15], 0
	v_mov_b32_e32 v5, 0
	v_mov_b32_e32 v6, s21
.LBB82_13:                              ; =>This Inner Loop Header: Depth=1
	v_add_co_u32_e32 v2, vcc, s20, v2
	v_addc_co_u32_e32 v3, vcc, v3, v6, vcc
	v_cmp_le_i64_e32 vcc, s[10:11], v[2:3]
	ds_write_b32 v4, v5
	s_or_b64 s[14:15], vcc, s[14:15]
	v_add_u32_e32 v4, s22, v4
	s_andn2_b64 exec, exec, s[14:15]
	s_cbranch_execnz .LBB82_13
; %bb.14:
	s_or_b64 exec, exec, s[14:15]
	v_mov_b32_e32 v4, s7
.LBB82_15:
	s_or_b64 exec, exec, s[2:3]
.LBB82_16:
	s_or_b64 exec, exec, s[12:13]
	s_load_dwordx2 s[20:21], s[4:5], 0x4f0
	v_and_b32_e32 v2, 0xffff, v4
	v_mad_u64_u32 v[4:5], s[2:3], s6, v2, v[0:1]
	v_mov_b32_e32 v6, 0
	v_mov_b32_e32 v5, v6
	s_waitcnt lgkmcnt(0)
	v_cmp_gt_i64_e32 vcc, s[20:21], v[4:5]
	s_barrier
	s_waitcnt lgkmcnt(0)
                                        ; kill: def $vgpr3 killed $sgpr0 killed $exec
	s_and_saveexec_b64 s[6:7], vcc
	s_cbranch_execz .LBB82_28
; %bb.17:
	s_load_dword s26, s[4:5], 0x4d8
	s_load_dwordx2 s[22:23], s[4:5], 0x410
	s_load_dwordx4 s[12:15], s[4:5], 0x4e0
	s_add_u32 s27, s4, 0x340
	s_addc_u32 s28, s5, 0
	s_waitcnt lgkmcnt(0)
	s_cmp_gt_i32 s26, 1
	s_cselect_b64 s[2:3], -1, 0
	s_xor_b32 s25, s12, s13
	s_flbit_i32 s24, s13
	s_ashr_i32 s25, s25, 31
	s_add_i32 s24, s24, -1
	s_add_i32 s25, s25, 32
	s_min_u32 s29, s24, s25
	s_lshl_b64 s[24:25], s[12:13], s29
	s_min_u32 s24, s24, 1
	s_or_b32 s24, s25, s24
	v_cvt_f32_i32_e32 v3, s24
	s_load_dword s30, s[18:19], 0x0
	s_load_dwordx2 s[24:25], s[4:5], 0x340
	s_sub_i32 s4, 32, s29
	s_mov_b32 s5, 0
	v_ldexp_f32 v3, v3, s4
	s_add_i32 s4, s26, -1
	s_add_i32 s33, s26, 1
	s_lshl_b64 s[4:5], s[4:5], 3
	s_add_u32 s4, s4, s27
	v_mov_b32_e32 v7, s14
	s_addc_u32 s5, s5, s28
	v_sub_f32_e32 v9, s15, v7
	s_add_u32 s18, s4, 8
	v_cndmask_b32_e64 v7, 0, 1, s[2:3]
	s_waitcnt lgkmcnt(0)
	v_mul_lo_u32 v8, s30, v2
	s_addc_u32 s19, s5, 0
	s_mov_b64 s[26:27], 0
	v_cmp_ne_u32_e64 s[2:3], 1, v7
	v_mov_b32_e32 v16, 1.0
	s_branch .LBB82_19
.LBB82_18:                              ;   in Loop: Header=BB82_19 Depth=1
	s_or_b64 exec, exec, s[4:5]
	v_add_co_u32_e32 v4, vcc, v4, v8
	v_addc_co_u32_e32 v5, vcc, 0, v5, vcc
	v_cmp_le_i64_e32 vcc, s[20:21], v[4:5]
	s_or_b64 s[26:27], vcc, s[26:27]
	s_andn2_b64 exec, exec, s[26:27]
	s_cbranch_execz .LBB82_28
.LBB82_19:                              ; =>This Loop Header: Depth=1
                                        ;     Child Loop BB82_20 Depth 2
	s_and_b64 vcc, exec, s[2:3]
	v_pk_mov_b32 v[10:11], 0, 0
	s_mov_b64 s[28:29], s[18:19]
	s_mov_b32 s40, s33
	v_pk_mov_b32 v[12:13], v[4:5], v[4:5] op_sel:[0,1]
	v_pk_mov_b32 v[14:15], v[4:5], v[4:5] op_sel:[0,1]
	s_cbranch_vccnz .LBB82_26
.LBB82_20:                              ;   Parent Loop BB82_19 Depth=1
                                        ; =>  This Inner Loop Header: Depth=2
	s_load_dwordx2 s[30:31], s[28:29], 0x0
                                        ; implicit-def: $vgpr14_vgpr15
	s_waitcnt lgkmcnt(0)
	v_or_b32_e32 v7, s31, v13
	v_cmp_ne_u64_e32 vcc, 0, v[6:7]
	s_and_saveexec_b64 s[4:5], vcc
	s_xor_b64 s[34:35], exec, s[4:5]
	s_cbranch_execz .LBB82_22
; %bb.21:                               ;   in Loop: Header=BB82_20 Depth=2
	s_ashr_i32 s36, s31, 31
	s_add_u32 s4, s30, s36
	s_mov_b32 s37, s36
	s_addc_u32 s5, s31, s36
	s_xor_b64 s[38:39], s[4:5], s[36:37]
	v_cvt_f32_u32_e32 v7, s38
	v_cvt_f32_u32_e32 v14, s39
	s_sub_u32 s4, 0, s38
	s_subb_u32 s5, 0, s39
	v_mac_f32_e32 v7, 0x4f800000, v14
	v_rcp_f32_e32 v7, v7
	v_mul_f32_e32 v7, 0x5f7ffffc, v7
	v_mul_f32_e32 v14, 0x2f800000, v7
	v_trunc_f32_e32 v14, v14
	v_mac_f32_e32 v7, 0xcf800000, v14
	v_cvt_u32_f32_e32 v14, v14
	v_cvt_u32_f32_e32 v7, v7
	v_mul_lo_u32 v15, s4, v14
	v_mul_hi_u32 v18, s4, v7
	v_mul_lo_u32 v17, s5, v7
	v_add_u32_e32 v15, v18, v15
	v_mul_lo_u32 v19, s4, v7
	v_add_u32_e32 v15, v15, v17
	v_mul_lo_u32 v18, v7, v15
	v_mul_hi_u32 v20, v7, v19
	v_mul_hi_u32 v17, v7, v15
	v_add_co_u32_e32 v18, vcc, v20, v18
	v_addc_co_u32_e32 v17, vcc, 0, v17, vcc
	v_mul_hi_u32 v21, v14, v19
	v_mul_lo_u32 v19, v14, v19
	v_add_co_u32_e32 v18, vcc, v18, v19
	v_mul_hi_u32 v20, v14, v15
	v_addc_co_u32_e32 v17, vcc, v17, v21, vcc
	v_addc_co_u32_e32 v18, vcc, 0, v20, vcc
	v_mul_lo_u32 v15, v14, v15
	v_add_co_u32_e32 v15, vcc, v17, v15
	v_addc_co_u32_e32 v17, vcc, 0, v18, vcc
	v_add_co_u32_e32 v7, vcc, v7, v15
	v_addc_co_u32_e32 v14, vcc, v14, v17, vcc
	v_mul_lo_u32 v15, s4, v14
	v_mul_hi_u32 v17, s4, v7
	v_add_u32_e32 v15, v17, v15
	v_mul_lo_u32 v17, s5, v7
	v_add_u32_e32 v15, v15, v17
	v_mul_lo_u32 v18, s4, v7
	v_mul_hi_u32 v19, v14, v18
	v_mul_lo_u32 v20, v14, v18
	v_mul_lo_u32 v22, v7, v15
	v_mul_hi_u32 v18, v7, v18
	v_mul_hi_u32 v21, v7, v15
	v_add_co_u32_e32 v18, vcc, v18, v22
	v_addc_co_u32_e32 v21, vcc, 0, v21, vcc
	v_add_co_u32_e32 v18, vcc, v18, v20
	v_mul_hi_u32 v17, v14, v15
	v_addc_co_u32_e32 v18, vcc, v21, v19, vcc
	v_addc_co_u32_e32 v17, vcc, 0, v17, vcc
	v_mul_lo_u32 v15, v14, v15
	v_add_co_u32_e32 v15, vcc, v18, v15
	v_addc_co_u32_e32 v17, vcc, 0, v17, vcc
	v_add_co_u32_e32 v7, vcc, v7, v15
	v_addc_co_u32_e32 v17, vcc, v14, v17, vcc
	v_ashrrev_i32_e32 v20, 31, v13
	v_add_co_u32_e32 v14, vcc, v12, v20
	v_addc_co_u32_e32 v15, vcc, v13, v20, vcc
	v_xor_b32_e32 v22, v14, v20
	v_xor_b32_e32 v21, v15, v20
	v_mad_u64_u32 v[14:15], s[4:5], v22, v17, 0
	v_mul_hi_u32 v18, v22, v7
	v_add_co_u32_e32 v23, vcc, v18, v14
	v_addc_co_u32_e32 v24, vcc, 0, v15, vcc
	v_mad_u64_u32 v[18:19], s[4:5], v21, v7, 0
	v_add_co_u32_e32 v7, vcc, v23, v18
	v_mad_u64_u32 v[14:15], s[4:5], v21, v17, 0
	v_addc_co_u32_e32 v7, vcc, v24, v19, vcc
	v_addc_co_u32_e32 v15, vcc, 0, v15, vcc
	v_add_co_u32_e32 v7, vcc, v7, v14
	v_addc_co_u32_e32 v17, vcc, 0, v15, vcc
	v_mul_lo_u32 v18, s39, v7
	v_mul_lo_u32 v19, s38, v17
	v_mad_u64_u32 v[14:15], s[4:5], s38, v7, 0
	v_add3_u32 v15, v15, v19, v18
	v_sub_u32_e32 v18, v21, v15
	v_mov_b32_e32 v19, s39
	v_sub_co_u32_e32 v14, vcc, v22, v14
	v_subb_co_u32_e64 v18, s[4:5], v18, v19, vcc
	v_subrev_co_u32_e64 v19, s[4:5], s38, v14
	v_subbrev_co_u32_e64 v18, s[4:5], 0, v18, s[4:5]
	v_cmp_le_u32_e64 s[4:5], s39, v18
	v_cndmask_b32_e64 v22, 0, -1, s[4:5]
	v_cmp_le_u32_e64 s[4:5], s38, v19
	v_cndmask_b32_e64 v19, 0, -1, s[4:5]
	v_cmp_eq_u32_e64 s[4:5], s39, v18
	v_cndmask_b32_e64 v18, v22, v19, s[4:5]
	v_add_co_u32_e64 v19, s[4:5], 2, v7
	v_subb_co_u32_e32 v15, vcc, v21, v15, vcc
	v_addc_co_u32_e64 v22, s[4:5], 0, v17, s[4:5]
	v_cmp_le_u32_e32 vcc, s39, v15
	v_add_co_u32_e64 v23, s[4:5], 1, v7
	v_cndmask_b32_e64 v21, 0, -1, vcc
	v_cmp_le_u32_e32 vcc, s38, v14
	v_addc_co_u32_e64 v24, s[4:5], 0, v17, s[4:5]
	v_cndmask_b32_e64 v14, 0, -1, vcc
	v_cmp_eq_u32_e32 vcc, s39, v15
	v_cmp_ne_u32_e64 s[4:5], 0, v18
	v_cndmask_b32_e32 v14, v21, v14, vcc
	v_cmp_ne_u32_e32 vcc, 0, v14
	v_cndmask_b32_e64 v15, v23, v19, s[4:5]
	v_cndmask_b32_e64 v18, v24, v22, s[4:5]
	v_cndmask_b32_e32 v7, v7, v15, vcc
	v_xor_b32_e32 v15, s36, v20
	v_cndmask_b32_e32 v14, v17, v18, vcc
	v_xor_b32_e32 v7, v7, v15
	v_xor_b32_e32 v17, v14, v15
	v_sub_co_u32_e32 v14, vcc, v7, v15
	v_subb_co_u32_e32 v15, vcc, v17, v15, vcc
.LBB82_22:                              ;   in Loop: Header=BB82_20 Depth=2
	s_andn2_saveexec_b64 s[4:5], s[34:35]
	s_cbranch_execz .LBB82_24
; %bb.23:                               ;   in Loop: Header=BB82_20 Depth=2
	v_cvt_f32_u32_e32 v7, s30
	s_sub_i32 s34, 0, s30
	v_rcp_iflag_f32_e32 v7, v7
	v_mul_f32_e32 v7, 0x4f7ffffe, v7
	v_cvt_u32_f32_e32 v7, v7
	v_mul_lo_u32 v14, s34, v7
	v_mul_hi_u32 v14, v7, v14
	v_add_u32_e32 v7, v7, v14
	v_mul_hi_u32 v7, v12, v7
	v_mul_lo_u32 v14, v7, s30
	v_sub_u32_e32 v14, v12, v14
	v_add_u32_e32 v15, 1, v7
	v_subrev_u32_e32 v17, s30, v14
	v_cmp_le_u32_e32 vcc, s30, v14
	v_cndmask_b32_e32 v14, v14, v17, vcc
	v_cndmask_b32_e32 v7, v7, v15, vcc
	v_add_u32_e32 v15, 1, v7
	v_cmp_le_u32_e32 vcc, s30, v14
	v_cndmask_b32_e32 v14, v7, v15, vcc
	v_mov_b32_e32 v15, v6
.LBB82_24:                              ;   in Loop: Header=BB82_20 Depth=2
	s_or_b64 exec, exec, s[4:5]
	v_mad_u64_u32 v[18:19], s[4:5], v14, s30, 0
	s_load_dwordx2 s[4:5], s[28:29], 0xc8
	v_mul_lo_u32 v7, v15, s30
	v_mul_lo_u32 v17, v14, s31
	v_add3_u32 v7, v19, v17, v7
	v_sub_co_u32_e32 v12, vcc, v12, v18
	s_add_i32 s40, s40, -1
	v_subb_co_u32_e32 v7, vcc, v13, v7, vcc
	s_add_u32 s28, s28, -8
	s_waitcnt lgkmcnt(0)
	v_mul_lo_u32 v7, s4, v7
	v_mul_lo_u32 v13, s5, v12
	v_mad_u64_u32 v[10:11], s[4:5], s4, v12, v[10:11]
	s_addc_u32 s29, s29, -1
	s_cmp_gt_u32 s40, 2
	v_add3_u32 v11, v13, v11, v7
	s_cbranch_scc0 .LBB82_26
; %bb.25:                               ;   in Loop: Header=BB82_20 Depth=2
	v_pk_mov_b32 v[12:13], v[14:15], v[14:15] op_sel:[0,1]
	s_branch .LBB82_20
.LBB82_26:                              ;   in Loop: Header=BB82_19 Depth=1
	v_mul_lo_u32 v7, s23, v14
	v_mul_lo_u32 v15, s22, v15
	v_mad_u64_u32 v[12:13], s[4:5], s22, v14, 0
	v_add3_u32 v13, v13, v15, v7
	v_lshlrev_b64 v[12:13], 2, v[12:13]
	v_mov_b32_e32 v7, s25
	v_add_co_u32_e32 v12, vcc, s24, v12
	v_addc_co_u32_e32 v7, vcc, v7, v13, vcc
	v_lshlrev_b64 v[10:11], 2, v[10:11]
	v_add_co_u32_e32 v10, vcc, v12, v10
	v_addc_co_u32_e32 v11, vcc, v7, v11, vcc
	global_load_dword v7, v[10:11], off
	s_waitcnt vmcnt(0)
	v_cmp_le_f32_e32 vcc, s14, v7
	v_cmp_ge_f32_e64 s[4:5], s15, v7
	s_and_b64 s[28:29], vcc, s[4:5]
	s_and_saveexec_b64 s[4:5], s[28:29]
	s_cbranch_execz .LBB82_18
; %bb.27:                               ;   in Loop: Header=BB82_19 Depth=1
	v_subrev_f32_e32 v7, s14, v7
	v_mul_f32_e32 v7, v7, v3
	v_div_scale_f32 v10, s[28:29], v9, v9, v7
	v_rcp_f32_e32 v11, v10
	v_div_scale_f32 v12, vcc, v7, v9, v7
	v_fma_f32 v13, -v10, v11, 1.0
	v_fmac_f32_e32 v11, v13, v11
	v_mul_f32_e32 v13, v12, v11
	v_fma_f32 v14, -v10, v13, v12
	v_fmac_f32_e32 v13, v14, v11
	v_fma_f32 v10, -v10, v13, v12
	v_div_fmas_f32 v10, v10, v11, v13
	v_div_fixup_f32 v7, v10, v9, v7
	v_cvt_i32_f32_e32 v10, v7
	v_ashrrev_i32_e32 v11, 31, v10
	v_cmp_eq_u64_e32 vcc, s[12:13], v[10:11]
	v_cndmask_b32_e64 v7, 0, -1, vcc
	v_lshlrev_b32_e32 v7, 2, v7
	v_lshlrev_b32_e32 v10, 2, v10
	v_add3_u32 v7, 0, v7, v10
	ds_add_f32 v7, v16
	s_waitcnt lgkmcnt(0)
	s_branch .LBB82_18
.LBB82_28:
	s_or_b64 exec, exec, s[6:7]
; %bb.29:
	s_barrier
	s_and_saveexec_b64 s[2:3], s[0:1]
	s_cbranch_execz .LBB82_32
; %bb.30:
	v_mad_u64_u32 v[4:5], s[0:1], s16, v0, 0
	v_mov_b32_e32 v6, v5
	v_mad_u64_u32 v[6:7], s[0:1], s17, v0, v[6:7]
	v_mov_b32_e32 v5, v6
	;; [unrolled: 2-line block ×3, first 2 shown]
	v_lshlrev_b64 v[4:5], 2, v[4:5]
	v_mad_u64_u32 v[8:9], s[0:1], s17, v2, v[8:9]
	v_mov_b32_e32 v3, s9
	v_add_co_u32_e32 v4, vcc, s8, v4
	v_mov_b32_e32 v7, v8
	v_addc_co_u32_e32 v5, vcc, v3, v5, vcc
	v_lshlrev_b64 v[6:7], 2, v[6:7]
	v_lshl_add_u32 v3, v0, 2, 0
	v_lshlrev_b32_e32 v8, 2, v2
	s_mov_b64 s[0:1], 0
.LBB82_31:                              ; =>This Inner Loop Header: Depth=1
	ds_read_b32 v9, v3
	v_add_co_u32_e32 v0, vcc, v0, v2
	v_addc_co_u32_e32 v1, vcc, 0, v1, vcc
	s_waitcnt lgkmcnt(0)
	global_atomic_add_f32 v[4:5], v9, off
	v_cmp_le_i64_e32 vcc, s[10:11], v[0:1]
	s_or_b64 s[0:1], vcc, s[0:1]
	v_add_co_u32_e32 v4, vcc, v4, v6
	v_add_u32_e32 v3, v3, v8
	v_addc_co_u32_e32 v5, vcc, v5, v7, vcc
	s_andn2_b64 exec, exec, s[0:1]
	s_cbranch_execnz .LBB82_31
.LBB82_32:
	s_endpgm
	.section	.rodata,"a",@progbits
	.p2align	6, 0x0
	.amdhsa_kernel _ZN2at4cuda17kernelHistogram1DIfflLi1ELi2ELin1ELNS0_23CUDAHistogramMemoryTypeE0EZNS0_21CUDA_tensor_histogramIffLb0EEEbNS_6TensorES4_S4_lNS_14AccumulateTypeIT0_Lb1EE4typeES8_NS0_13TensorArgTypeES9_S9_EUllE0_EEvNS0_6detail10TensorInfoIT_T1_EESF_NSC_IKS6_SE_EElS8_S8_SE_T6_
		.amdhsa_group_segment_fixed_size 0
		.amdhsa_private_segment_fixed_size 0
		.amdhsa_kernarg_size 1536
		.amdhsa_user_sgpr_count 6
		.amdhsa_user_sgpr_private_segment_buffer 1
		.amdhsa_user_sgpr_dispatch_ptr 0
		.amdhsa_user_sgpr_queue_ptr 0
		.amdhsa_user_sgpr_kernarg_segment_ptr 1
		.amdhsa_user_sgpr_dispatch_id 0
		.amdhsa_user_sgpr_flat_scratch_init 0
		.amdhsa_user_sgpr_kernarg_preload_length 0
		.amdhsa_user_sgpr_kernarg_preload_offset 0
		.amdhsa_user_sgpr_private_segment_size 0
		.amdhsa_uses_dynamic_stack 0
		.amdhsa_system_sgpr_private_segment_wavefront_offset 0
		.amdhsa_system_sgpr_workgroup_id_x 1
		.amdhsa_system_sgpr_workgroup_id_y 0
		.amdhsa_system_sgpr_workgroup_id_z 0
		.amdhsa_system_sgpr_workgroup_info 0
		.amdhsa_system_vgpr_workitem_id 0
		.amdhsa_next_free_vgpr 25
		.amdhsa_next_free_sgpr 41
		.amdhsa_accum_offset 28
		.amdhsa_reserve_vcc 1
		.amdhsa_reserve_flat_scratch 0
		.amdhsa_float_round_mode_32 0
		.amdhsa_float_round_mode_16_64 0
		.amdhsa_float_denorm_mode_32 3
		.amdhsa_float_denorm_mode_16_64 3
		.amdhsa_dx10_clamp 1
		.amdhsa_ieee_mode 1
		.amdhsa_fp16_overflow 0
		.amdhsa_tg_split 0
		.amdhsa_exception_fp_ieee_invalid_op 0
		.amdhsa_exception_fp_denorm_src 0
		.amdhsa_exception_fp_ieee_div_zero 0
		.amdhsa_exception_fp_ieee_overflow 0
		.amdhsa_exception_fp_ieee_underflow 0
		.amdhsa_exception_fp_ieee_inexact 0
		.amdhsa_exception_int_div_zero 0
	.end_amdhsa_kernel
	.section	.text._ZN2at4cuda17kernelHistogram1DIfflLi1ELi2ELin1ELNS0_23CUDAHistogramMemoryTypeE0EZNS0_21CUDA_tensor_histogramIffLb0EEEbNS_6TensorES4_S4_lNS_14AccumulateTypeIT0_Lb1EE4typeES8_NS0_13TensorArgTypeES9_S9_EUllE0_EEvNS0_6detail10TensorInfoIT_T1_EESF_NSC_IKS6_SE_EElS8_S8_SE_T6_,"axG",@progbits,_ZN2at4cuda17kernelHistogram1DIfflLi1ELi2ELin1ELNS0_23CUDAHistogramMemoryTypeE0EZNS0_21CUDA_tensor_histogramIffLb0EEEbNS_6TensorES4_S4_lNS_14AccumulateTypeIT0_Lb1EE4typeES8_NS0_13TensorArgTypeES9_S9_EUllE0_EEvNS0_6detail10TensorInfoIT_T1_EESF_NSC_IKS6_SE_EElS8_S8_SE_T6_,comdat
.Lfunc_end82:
	.size	_ZN2at4cuda17kernelHistogram1DIfflLi1ELi2ELin1ELNS0_23CUDAHistogramMemoryTypeE0EZNS0_21CUDA_tensor_histogramIffLb0EEEbNS_6TensorES4_S4_lNS_14AccumulateTypeIT0_Lb1EE4typeES8_NS0_13TensorArgTypeES9_S9_EUllE0_EEvNS0_6detail10TensorInfoIT_T1_EESF_NSC_IKS6_SE_EElS8_S8_SE_T6_, .Lfunc_end82-_ZN2at4cuda17kernelHistogram1DIfflLi1ELi2ELin1ELNS0_23CUDAHistogramMemoryTypeE0EZNS0_21CUDA_tensor_histogramIffLb0EEEbNS_6TensorES4_S4_lNS_14AccumulateTypeIT0_Lb1EE4typeES8_NS0_13TensorArgTypeES9_S9_EUllE0_EEvNS0_6detail10TensorInfoIT_T1_EESF_NSC_IKS6_SE_EElS8_S8_SE_T6_
                                        ; -- End function
	.section	.AMDGPU.csdata,"",@progbits
; Kernel info:
; codeLenInByte = 2736
; NumSgprs: 45
; NumVgprs: 25
; NumAgprs: 0
; TotalNumVgprs: 25
; ScratchSize: 0
; MemoryBound: 0
; FloatMode: 240
; IeeeMode: 1
; LDSByteSize: 0 bytes/workgroup (compile time only)
; SGPRBlocks: 5
; VGPRBlocks: 3
; NumSGPRsForWavesPerEU: 45
; NumVGPRsForWavesPerEU: 25
; AccumOffset: 28
; Occupancy: 8
; WaveLimiterHint : 1
; COMPUTE_PGM_RSRC2:SCRATCH_EN: 0
; COMPUTE_PGM_RSRC2:USER_SGPR: 6
; COMPUTE_PGM_RSRC2:TRAP_HANDLER: 0
; COMPUTE_PGM_RSRC2:TGID_X_EN: 1
; COMPUTE_PGM_RSRC2:TGID_Y_EN: 0
; COMPUTE_PGM_RSRC2:TGID_Z_EN: 0
; COMPUTE_PGM_RSRC2:TIDIG_COMP_CNT: 0
; COMPUTE_PGM_RSRC3_GFX90A:ACCUM_OFFSET: 6
; COMPUTE_PGM_RSRC3_GFX90A:TG_SPLIT: 0
	.section	.text._ZN2at4cuda17kernelHistogram1DIfflLi1ELi2ELin1ELNS0_23CUDAHistogramMemoryTypeE1EZNS0_21CUDA_tensor_histogramIffLb0EEEbNS_6TensorES4_S4_lNS_14AccumulateTypeIT0_Lb1EE4typeES8_NS0_13TensorArgTypeES9_S9_EUllE0_EEvNS0_6detail10TensorInfoIT_T1_EESF_NSC_IKS6_SE_EElS8_S8_SE_T6_,"axG",@progbits,_ZN2at4cuda17kernelHistogram1DIfflLi1ELi2ELin1ELNS0_23CUDAHistogramMemoryTypeE1EZNS0_21CUDA_tensor_histogramIffLb0EEEbNS_6TensorES4_S4_lNS_14AccumulateTypeIT0_Lb1EE4typeES8_NS0_13TensorArgTypeES9_S9_EUllE0_EEvNS0_6detail10TensorInfoIT_T1_EESF_NSC_IKS6_SE_EElS8_S8_SE_T6_,comdat
	.protected	_ZN2at4cuda17kernelHistogram1DIfflLi1ELi2ELin1ELNS0_23CUDAHistogramMemoryTypeE1EZNS0_21CUDA_tensor_histogramIffLb0EEEbNS_6TensorES4_S4_lNS_14AccumulateTypeIT0_Lb1EE4typeES8_NS0_13TensorArgTypeES9_S9_EUllE0_EEvNS0_6detail10TensorInfoIT_T1_EESF_NSC_IKS6_SE_EElS8_S8_SE_T6_ ; -- Begin function _ZN2at4cuda17kernelHistogram1DIfflLi1ELi2ELin1ELNS0_23CUDAHistogramMemoryTypeE1EZNS0_21CUDA_tensor_histogramIffLb0EEEbNS_6TensorES4_S4_lNS_14AccumulateTypeIT0_Lb1EE4typeES8_NS0_13TensorArgTypeES9_S9_EUllE0_EEvNS0_6detail10TensorInfoIT_T1_EESF_NSC_IKS6_SE_EElS8_S8_SE_T6_
	.globl	_ZN2at4cuda17kernelHistogram1DIfflLi1ELi2ELin1ELNS0_23CUDAHistogramMemoryTypeE1EZNS0_21CUDA_tensor_histogramIffLb0EEEbNS_6TensorES4_S4_lNS_14AccumulateTypeIT0_Lb1EE4typeES8_NS0_13TensorArgTypeES9_S9_EUllE0_EEvNS0_6detail10TensorInfoIT_T1_EESF_NSC_IKS6_SE_EElS8_S8_SE_T6_
	.p2align	8
	.type	_ZN2at4cuda17kernelHistogram1DIfflLi1ELi2ELin1ELNS0_23CUDAHistogramMemoryTypeE1EZNS0_21CUDA_tensor_histogramIffLb0EEEbNS_6TensorES4_S4_lNS_14AccumulateTypeIT0_Lb1EE4typeES8_NS0_13TensorArgTypeES9_S9_EUllE0_EEvNS0_6detail10TensorInfoIT_T1_EESF_NSC_IKS6_SE_EElS8_S8_SE_T6_,@function
_ZN2at4cuda17kernelHistogram1DIfflLi1ELi2ELin1ELNS0_23CUDAHistogramMemoryTypeE1EZNS0_21CUDA_tensor_histogramIffLb0EEEbNS_6TensorES4_S4_lNS_14AccumulateTypeIT0_Lb1EE4typeES8_NS0_13TensorArgTypeES9_S9_EUllE0_EEvNS0_6detail10TensorInfoIT_T1_EESF_NSC_IKS6_SE_EElS8_S8_SE_T6_: ; @_ZN2at4cuda17kernelHistogram1DIfflLi1ELi2ELin1ELNS0_23CUDAHistogramMemoryTypeE1EZNS0_21CUDA_tensor_histogramIffLb0EEEbNS_6TensorES4_S4_lNS_14AccumulateTypeIT0_Lb1EE4typeES8_NS0_13TensorArgTypeES9_S9_EUllE0_EEvNS0_6detail10TensorInfoIT_T1_EESF_NSC_IKS6_SE_EElS8_S8_SE_T6_
; %bb.0:
	s_load_dword s2, s[4:5], 0x50c
	s_load_dwordx2 s[12:13], s[4:5], 0x4f0
	s_add_u32 s0, s4, 0x500
	s_addc_u32 s1, s5, 0
	v_mov_b32_e32 v2, 0
	s_waitcnt lgkmcnt(0)
	s_and_b32 s2, s2, 0xffff
	s_mul_i32 s6, s6, s2
	v_add_u32_e32 v0, s6, v0
	v_mov_b32_e32 v1, v2
	v_cmp_gt_i64_e32 vcc, s[12:13], v[0:1]
	s_and_saveexec_b64 s[6:7], vcc
	s_cbranch_execz .LBB83_12
; %bb.1:
	s_load_dwordx4 s[8:11], s[4:5], 0x4e0
	s_load_dword s3, s[4:5], 0x4d8
	s_add_u32 s20, s4, 0x340
	s_addc_u32 s21, s5, 0
	s_load_dwordx2 s[6:7], s[4:5], 0x0
	s_load_dwordx2 s[14:15], s[4:5], 0xd0
	s_load_dword s22, s[0:1], 0x0
	s_waitcnt lgkmcnt(0)
	s_flbit_i32 s16, s9
	s_cmp_gt_i32 s3, 1
	s_cselect_b64 s[0:1], -1, 0
	s_xor_b32 s17, s8, s9
	s_ashr_i32 s17, s17, 31
	s_add_i32 s16, s16, -1
	s_add_i32 s17, s17, 32
	s_min_u32 s23, s16, s17
	s_lshl_b64 s[16:17], s[8:9], s23
	s_min_u32 s16, s16, 1
	s_or_b32 s16, s17, s16
	v_cvt_f32_i32_e32 v3, s16
	s_mov_b32 s34, 0
	s_mul_i32 s33, s22, s2
	s_add_i32 s35, s3, 1
	s_add_i32 s2, s3, -1
	s_mov_b32 s3, s34
	s_load_dwordx2 s[16:17], s[4:5], 0x410
	s_load_dwordx2 s[18:19], s[4:5], 0x340
	s_sub_i32 s4, 32, s23
	s_lshl_b64 s[2:3], s[2:3], 3
	s_add_u32 s2, s2, s20
	v_ldexp_f32 v10, v3, s4
	v_mov_b32_e32 v3, s10
	s_addc_u32 s3, s3, s21
	v_sub_f32_e32 v11, s11, v3
	s_add_u32 s4, s2, 8
	v_cndmask_b32_e64 v3, 0, 1, s[0:1]
	s_addc_u32 s5, s3, 0
	s_mov_b64 s[20:21], 0
	v_cmp_ne_u32_e64 s[0:1], 1, v3
	v_mov_b32_e32 v12, 1.0
	s_branch .LBB83_3
.LBB83_2:                               ;   in Loop: Header=BB83_3 Depth=1
	s_or_b64 exec, exec, s[2:3]
	v_mov_b32_e32 v3, s34
	v_add_co_u32_e32 v0, vcc, s33, v0
	v_addc_co_u32_e32 v1, vcc, v1, v3, vcc
	v_cmp_le_i64_e32 vcc, s[12:13], v[0:1]
	s_or_b64 s[20:21], vcc, s[20:21]
	s_andn2_b64 exec, exec, s[20:21]
	s_cbranch_execz .LBB83_12
.LBB83_3:                               ; =>This Loop Header: Depth=1
                                        ;     Child Loop BB83_4 Depth 2
	s_and_b64 vcc, exec, s[0:1]
	v_pk_mov_b32 v[4:5], 0, 0
	s_mov_b64 s[22:23], s[4:5]
	s_mov_b32 s36, s35
	v_pk_mov_b32 v[6:7], v[0:1], v[0:1] op_sel:[0,1]
	v_pk_mov_b32 v[8:9], v[0:1], v[0:1] op_sel:[0,1]
	s_cbranch_vccnz .LBB83_10
.LBB83_4:                               ;   Parent Loop BB83_3 Depth=1
                                        ; =>  This Inner Loop Header: Depth=2
	s_load_dwordx2 s[24:25], s[22:23], 0x0
                                        ; implicit-def: $vgpr8_vgpr9
	s_waitcnt lgkmcnt(0)
	v_or_b32_e32 v3, s25, v7
	v_cmp_ne_u64_e32 vcc, 0, v[2:3]
	s_and_saveexec_b64 s[2:3], vcc
	s_xor_b64 s[26:27], exec, s[2:3]
	s_cbranch_execz .LBB83_6
; %bb.5:                                ;   in Loop: Header=BB83_4 Depth=2
	s_ashr_i32 s28, s25, 31
	s_add_u32 s2, s24, s28
	s_mov_b32 s29, s28
	s_addc_u32 s3, s25, s28
	s_xor_b64 s[30:31], s[2:3], s[28:29]
	v_cvt_f32_u32_e32 v3, s30
	v_cvt_f32_u32_e32 v8, s31
	s_sub_u32 s2, 0, s30
	s_subb_u32 s3, 0, s31
	v_mac_f32_e32 v3, 0x4f800000, v8
	v_rcp_f32_e32 v3, v3
	v_mul_f32_e32 v3, 0x5f7ffffc, v3
	v_mul_f32_e32 v8, 0x2f800000, v3
	v_trunc_f32_e32 v8, v8
	v_mac_f32_e32 v3, 0xcf800000, v8
	v_cvt_u32_f32_e32 v8, v8
	v_cvt_u32_f32_e32 v3, v3
	v_mul_lo_u32 v9, s2, v8
	v_mul_hi_u32 v14, s2, v3
	v_mul_lo_u32 v13, s3, v3
	v_add_u32_e32 v9, v14, v9
	v_mul_lo_u32 v15, s2, v3
	v_add_u32_e32 v9, v9, v13
	v_mul_lo_u32 v14, v3, v9
	v_mul_hi_u32 v16, v3, v15
	v_mul_hi_u32 v13, v3, v9
	v_add_co_u32_e32 v14, vcc, v16, v14
	v_addc_co_u32_e32 v13, vcc, 0, v13, vcc
	v_mul_hi_u32 v17, v8, v15
	v_mul_lo_u32 v15, v8, v15
	v_add_co_u32_e32 v14, vcc, v14, v15
	v_mul_hi_u32 v16, v8, v9
	v_addc_co_u32_e32 v13, vcc, v13, v17, vcc
	v_addc_co_u32_e32 v14, vcc, 0, v16, vcc
	v_mul_lo_u32 v9, v8, v9
	v_add_co_u32_e32 v9, vcc, v13, v9
	v_addc_co_u32_e32 v13, vcc, 0, v14, vcc
	v_add_co_u32_e32 v3, vcc, v3, v9
	v_addc_co_u32_e32 v8, vcc, v8, v13, vcc
	v_mul_lo_u32 v9, s2, v8
	v_mul_hi_u32 v13, s2, v3
	v_add_u32_e32 v9, v13, v9
	v_mul_lo_u32 v13, s3, v3
	v_add_u32_e32 v9, v9, v13
	v_mul_lo_u32 v14, s2, v3
	v_mul_hi_u32 v15, v8, v14
	v_mul_lo_u32 v16, v8, v14
	v_mul_lo_u32 v18, v3, v9
	v_mul_hi_u32 v14, v3, v14
	v_mul_hi_u32 v17, v3, v9
	v_add_co_u32_e32 v14, vcc, v14, v18
	v_addc_co_u32_e32 v17, vcc, 0, v17, vcc
	v_add_co_u32_e32 v14, vcc, v14, v16
	v_mul_hi_u32 v13, v8, v9
	v_addc_co_u32_e32 v14, vcc, v17, v15, vcc
	v_addc_co_u32_e32 v13, vcc, 0, v13, vcc
	v_mul_lo_u32 v9, v8, v9
	v_add_co_u32_e32 v9, vcc, v14, v9
	v_addc_co_u32_e32 v13, vcc, 0, v13, vcc
	v_add_co_u32_e32 v3, vcc, v3, v9
	v_addc_co_u32_e32 v13, vcc, v8, v13, vcc
	v_ashrrev_i32_e32 v16, 31, v7
	v_add_co_u32_e32 v8, vcc, v6, v16
	v_addc_co_u32_e32 v9, vcc, v7, v16, vcc
	v_xor_b32_e32 v18, v8, v16
	v_xor_b32_e32 v17, v9, v16
	v_mad_u64_u32 v[8:9], s[2:3], v18, v13, 0
	v_mul_hi_u32 v14, v18, v3
	v_add_co_u32_e32 v19, vcc, v14, v8
	v_addc_co_u32_e32 v20, vcc, 0, v9, vcc
	v_mad_u64_u32 v[14:15], s[2:3], v17, v3, 0
	v_add_co_u32_e32 v3, vcc, v19, v14
	v_mad_u64_u32 v[8:9], s[2:3], v17, v13, 0
	v_addc_co_u32_e32 v3, vcc, v20, v15, vcc
	v_addc_co_u32_e32 v9, vcc, 0, v9, vcc
	v_add_co_u32_e32 v3, vcc, v3, v8
	v_addc_co_u32_e32 v13, vcc, 0, v9, vcc
	v_mul_lo_u32 v14, s31, v3
	v_mul_lo_u32 v15, s30, v13
	v_mad_u64_u32 v[8:9], s[2:3], s30, v3, 0
	v_add3_u32 v9, v9, v15, v14
	v_sub_u32_e32 v14, v17, v9
	v_mov_b32_e32 v15, s31
	v_sub_co_u32_e32 v8, vcc, v18, v8
	v_subb_co_u32_e64 v14, s[2:3], v14, v15, vcc
	v_subrev_co_u32_e64 v15, s[2:3], s30, v8
	v_subbrev_co_u32_e64 v14, s[2:3], 0, v14, s[2:3]
	v_cmp_le_u32_e64 s[2:3], s31, v14
	v_cndmask_b32_e64 v18, 0, -1, s[2:3]
	v_cmp_le_u32_e64 s[2:3], s30, v15
	v_cndmask_b32_e64 v15, 0, -1, s[2:3]
	v_cmp_eq_u32_e64 s[2:3], s31, v14
	v_cndmask_b32_e64 v14, v18, v15, s[2:3]
	v_add_co_u32_e64 v15, s[2:3], 2, v3
	v_subb_co_u32_e32 v9, vcc, v17, v9, vcc
	v_addc_co_u32_e64 v18, s[2:3], 0, v13, s[2:3]
	v_cmp_le_u32_e32 vcc, s31, v9
	v_add_co_u32_e64 v19, s[2:3], 1, v3
	v_cndmask_b32_e64 v17, 0, -1, vcc
	v_cmp_le_u32_e32 vcc, s30, v8
	v_addc_co_u32_e64 v20, s[2:3], 0, v13, s[2:3]
	v_cndmask_b32_e64 v8, 0, -1, vcc
	v_cmp_eq_u32_e32 vcc, s31, v9
	v_cmp_ne_u32_e64 s[2:3], 0, v14
	v_cndmask_b32_e32 v8, v17, v8, vcc
	v_cmp_ne_u32_e32 vcc, 0, v8
	v_cndmask_b32_e64 v9, v19, v15, s[2:3]
	v_cndmask_b32_e64 v14, v20, v18, s[2:3]
	v_cndmask_b32_e32 v3, v3, v9, vcc
	v_xor_b32_e32 v9, s28, v16
	v_cndmask_b32_e32 v8, v13, v14, vcc
	v_xor_b32_e32 v3, v3, v9
	v_xor_b32_e32 v13, v8, v9
	v_sub_co_u32_e32 v8, vcc, v3, v9
	v_subb_co_u32_e32 v9, vcc, v13, v9, vcc
.LBB83_6:                               ;   in Loop: Header=BB83_4 Depth=2
	s_andn2_saveexec_b64 s[2:3], s[26:27]
	s_cbranch_execz .LBB83_8
; %bb.7:                                ;   in Loop: Header=BB83_4 Depth=2
	v_cvt_f32_u32_e32 v3, s24
	s_sub_i32 s26, 0, s24
	v_rcp_iflag_f32_e32 v3, v3
	v_mul_f32_e32 v3, 0x4f7ffffe, v3
	v_cvt_u32_f32_e32 v3, v3
	v_mul_lo_u32 v8, s26, v3
	v_mul_hi_u32 v8, v3, v8
	v_add_u32_e32 v3, v3, v8
	v_mul_hi_u32 v3, v6, v3
	v_mul_lo_u32 v8, v3, s24
	v_sub_u32_e32 v8, v6, v8
	v_add_u32_e32 v9, 1, v3
	v_subrev_u32_e32 v13, s24, v8
	v_cmp_le_u32_e32 vcc, s24, v8
	v_cndmask_b32_e32 v8, v8, v13, vcc
	v_cndmask_b32_e32 v3, v3, v9, vcc
	v_add_u32_e32 v9, 1, v3
	v_cmp_le_u32_e32 vcc, s24, v8
	v_cndmask_b32_e32 v8, v3, v9, vcc
	v_mov_b32_e32 v9, v2
.LBB83_8:                               ;   in Loop: Header=BB83_4 Depth=2
	s_or_b64 exec, exec, s[2:3]
	v_mad_u64_u32 v[14:15], s[2:3], v8, s24, 0
	s_load_dwordx2 s[2:3], s[22:23], 0xc8
	v_mul_lo_u32 v3, v9, s24
	v_mul_lo_u32 v13, v8, s25
	v_add3_u32 v3, v15, v13, v3
	v_sub_co_u32_e32 v6, vcc, v6, v14
	s_add_i32 s36, s36, -1
	v_subb_co_u32_e32 v3, vcc, v7, v3, vcc
	s_add_u32 s22, s22, -8
	s_waitcnt lgkmcnt(0)
	v_mul_lo_u32 v3, s2, v3
	v_mul_lo_u32 v7, s3, v6
	v_mad_u64_u32 v[4:5], s[2:3], s2, v6, v[4:5]
	s_addc_u32 s23, s23, -1
	s_cmp_gt_u32 s36, 2
	v_add3_u32 v5, v7, v5, v3
	s_cbranch_scc0 .LBB83_10
; %bb.9:                                ;   in Loop: Header=BB83_4 Depth=2
	v_pk_mov_b32 v[6:7], v[8:9], v[8:9] op_sel:[0,1]
	s_branch .LBB83_4
.LBB83_10:                              ;   in Loop: Header=BB83_3 Depth=1
	s_waitcnt lgkmcnt(0)
	v_mul_lo_u32 v3, s17, v8
	v_mul_lo_u32 v9, s16, v9
	v_mad_u64_u32 v[6:7], s[2:3], s16, v8, 0
	v_add3_u32 v7, v7, v9, v3
	v_lshlrev_b64 v[6:7], 2, v[6:7]
	v_mov_b32_e32 v3, s19
	v_add_co_u32_e32 v6, vcc, s18, v6
	v_addc_co_u32_e32 v3, vcc, v3, v7, vcc
	v_lshlrev_b64 v[4:5], 2, v[4:5]
	v_add_co_u32_e32 v4, vcc, v6, v4
	v_addc_co_u32_e32 v5, vcc, v3, v5, vcc
	global_load_dword v3, v[4:5], off
	s_waitcnt vmcnt(0)
	v_cmp_le_f32_e32 vcc, s10, v3
	v_cmp_ge_f32_e64 s[2:3], s11, v3
	s_and_b64 s[22:23], vcc, s[2:3]
	s_and_saveexec_b64 s[2:3], s[22:23]
	s_cbranch_execz .LBB83_2
; %bb.11:                               ;   in Loop: Header=BB83_3 Depth=1
	v_subrev_f32_e32 v3, s10, v3
	v_mul_f32_e32 v3, v3, v10
	v_div_scale_f32 v4, s[22:23], v11, v11, v3
	v_rcp_f32_e32 v5, v4
	v_div_scale_f32 v6, vcc, v3, v11, v3
	v_fma_f32 v7, -v4, v5, 1.0
	v_fmac_f32_e32 v5, v7, v5
	v_mul_f32_e32 v7, v6, v5
	v_fma_f32 v8, -v4, v7, v6
	v_fmac_f32_e32 v7, v8, v5
	v_fma_f32 v4, -v4, v7, v6
	v_div_fmas_f32 v4, v4, v5, v7
	v_div_fixup_f32 v3, v4, v11, v3
	v_cvt_i32_f32_e32 v4, v3
	v_ashrrev_i32_e32 v5, 31, v4
	v_cmp_eq_u64_e32 vcc, s[8:9], v[4:5]
	v_cndmask_b32_e64 v3, 0, 1, vcc
	v_sub_co_u32_e32 v3, vcc, v4, v3
	v_subbrev_co_u32_e32 v4, vcc, 0, v5, vcc
	v_mul_lo_u32 v6, v4, s14
	v_mul_lo_u32 v7, v3, s15
	v_mad_u64_u32 v[4:5], s[22:23], v3, s14, 0
	v_add3_u32 v5, v5, v7, v6
	v_lshlrev_b64 v[4:5], 2, v[4:5]
	v_mov_b32_e32 v3, s7
	v_add_co_u32_e32 v4, vcc, s6, v4
	v_addc_co_u32_e32 v5, vcc, v3, v5, vcc
	global_atomic_add_f32 v[4:5], v12, off
	s_branch .LBB83_2
.LBB83_12:
	s_endpgm
	.section	.rodata,"a",@progbits
	.p2align	6, 0x0
	.amdhsa_kernel _ZN2at4cuda17kernelHistogram1DIfflLi1ELi2ELin1ELNS0_23CUDAHistogramMemoryTypeE1EZNS0_21CUDA_tensor_histogramIffLb0EEEbNS_6TensorES4_S4_lNS_14AccumulateTypeIT0_Lb1EE4typeES8_NS0_13TensorArgTypeES9_S9_EUllE0_EEvNS0_6detail10TensorInfoIT_T1_EESF_NSC_IKS6_SE_EElS8_S8_SE_T6_
		.amdhsa_group_segment_fixed_size 0
		.amdhsa_private_segment_fixed_size 0
		.amdhsa_kernarg_size 1536
		.amdhsa_user_sgpr_count 6
		.amdhsa_user_sgpr_private_segment_buffer 1
		.amdhsa_user_sgpr_dispatch_ptr 0
		.amdhsa_user_sgpr_queue_ptr 0
		.amdhsa_user_sgpr_kernarg_segment_ptr 1
		.amdhsa_user_sgpr_dispatch_id 0
		.amdhsa_user_sgpr_flat_scratch_init 0
		.amdhsa_user_sgpr_kernarg_preload_length 0
		.amdhsa_user_sgpr_kernarg_preload_offset 0
		.amdhsa_user_sgpr_private_segment_size 0
		.amdhsa_uses_dynamic_stack 0
		.amdhsa_system_sgpr_private_segment_wavefront_offset 0
		.amdhsa_system_sgpr_workgroup_id_x 1
		.amdhsa_system_sgpr_workgroup_id_y 0
		.amdhsa_system_sgpr_workgroup_id_z 0
		.amdhsa_system_sgpr_workgroup_info 0
		.amdhsa_system_vgpr_workitem_id 0
		.amdhsa_next_free_vgpr 21
		.amdhsa_next_free_sgpr 37
		.amdhsa_accum_offset 24
		.amdhsa_reserve_vcc 1
		.amdhsa_reserve_flat_scratch 0
		.amdhsa_float_round_mode_32 0
		.amdhsa_float_round_mode_16_64 0
		.amdhsa_float_denorm_mode_32 3
		.amdhsa_float_denorm_mode_16_64 3
		.amdhsa_dx10_clamp 1
		.amdhsa_ieee_mode 1
		.amdhsa_fp16_overflow 0
		.amdhsa_tg_split 0
		.amdhsa_exception_fp_ieee_invalid_op 0
		.amdhsa_exception_fp_denorm_src 0
		.amdhsa_exception_fp_ieee_div_zero 0
		.amdhsa_exception_fp_ieee_overflow 0
		.amdhsa_exception_fp_ieee_underflow 0
		.amdhsa_exception_fp_ieee_inexact 0
		.amdhsa_exception_int_div_zero 0
	.end_amdhsa_kernel
	.section	.text._ZN2at4cuda17kernelHistogram1DIfflLi1ELi2ELin1ELNS0_23CUDAHistogramMemoryTypeE1EZNS0_21CUDA_tensor_histogramIffLb0EEEbNS_6TensorES4_S4_lNS_14AccumulateTypeIT0_Lb1EE4typeES8_NS0_13TensorArgTypeES9_S9_EUllE0_EEvNS0_6detail10TensorInfoIT_T1_EESF_NSC_IKS6_SE_EElS8_S8_SE_T6_,"axG",@progbits,_ZN2at4cuda17kernelHistogram1DIfflLi1ELi2ELin1ELNS0_23CUDAHistogramMemoryTypeE1EZNS0_21CUDA_tensor_histogramIffLb0EEEbNS_6TensorES4_S4_lNS_14AccumulateTypeIT0_Lb1EE4typeES8_NS0_13TensorArgTypeES9_S9_EUllE0_EEvNS0_6detail10TensorInfoIT_T1_EESF_NSC_IKS6_SE_EElS8_S8_SE_T6_,comdat
.Lfunc_end83:
	.size	_ZN2at4cuda17kernelHistogram1DIfflLi1ELi2ELin1ELNS0_23CUDAHistogramMemoryTypeE1EZNS0_21CUDA_tensor_histogramIffLb0EEEbNS_6TensorES4_S4_lNS_14AccumulateTypeIT0_Lb1EE4typeES8_NS0_13TensorArgTypeES9_S9_EUllE0_EEvNS0_6detail10TensorInfoIT_T1_EESF_NSC_IKS6_SE_EElS8_S8_SE_T6_, .Lfunc_end83-_ZN2at4cuda17kernelHistogram1DIfflLi1ELi2ELin1ELNS0_23CUDAHistogramMemoryTypeE1EZNS0_21CUDA_tensor_histogramIffLb0EEEbNS_6TensorES4_S4_lNS_14AccumulateTypeIT0_Lb1EE4typeES8_NS0_13TensorArgTypeES9_S9_EUllE0_EEvNS0_6detail10TensorInfoIT_T1_EESF_NSC_IKS6_SE_EElS8_S8_SE_T6_
                                        ; -- End function
	.section	.AMDGPU.csdata,"",@progbits
; Kernel info:
; codeLenInByte = 1560
; NumSgprs: 41
; NumVgprs: 21
; NumAgprs: 0
; TotalNumVgprs: 21
; ScratchSize: 0
; MemoryBound: 0
; FloatMode: 240
; IeeeMode: 1
; LDSByteSize: 0 bytes/workgroup (compile time only)
; SGPRBlocks: 5
; VGPRBlocks: 2
; NumSGPRsForWavesPerEU: 41
; NumVGPRsForWavesPerEU: 21
; AccumOffset: 24
; Occupancy: 8
; WaveLimiterHint : 1
; COMPUTE_PGM_RSRC2:SCRATCH_EN: 0
; COMPUTE_PGM_RSRC2:USER_SGPR: 6
; COMPUTE_PGM_RSRC2:TRAP_HANDLER: 0
; COMPUTE_PGM_RSRC2:TGID_X_EN: 1
; COMPUTE_PGM_RSRC2:TGID_Y_EN: 0
; COMPUTE_PGM_RSRC2:TGID_Z_EN: 0
; COMPUTE_PGM_RSRC2:TIDIG_COMP_CNT: 0
; COMPUTE_PGM_RSRC3_GFX90A:ACCUM_OFFSET: 5
; COMPUTE_PGM_RSRC3_GFX90A:TG_SPLIT: 0
	.text
	.p2alignl 6, 3212836864
	.fill 256, 4, 3212836864
	.type	__hip_cuid_51588586eb4986ab,@object ; @__hip_cuid_51588586eb4986ab
	.section	.bss,"aw",@nobits
	.globl	__hip_cuid_51588586eb4986ab
__hip_cuid_51588586eb4986ab:
	.byte	0                               ; 0x0
	.size	__hip_cuid_51588586eb4986ab, 1

	.ident	"AMD clang version 19.0.0git (https://github.com/RadeonOpenCompute/llvm-project roc-6.4.0 25133 c7fe45cf4b819c5991fe208aaa96edf142730f1d)"
	.section	".note.GNU-stack","",@progbits
	.addrsig
	.addrsig_sym _ZN2at4cuda7my_smemE
	.addrsig_sym __hip_cuid_51588586eb4986ab
	.amdgpu_metadata
---
amdhsa.kernels:
  - .agpr_count:     0
    .args:
      - .offset:         0
        .size:           416
        .value_kind:     by_value
      - .offset:         416
        .size:           416
        .value_kind:     by_value
      - .offset:         832
        .size:           416
        .value_kind:     by_value
      - .offset:         1248
        .size:           8
        .value_kind:     by_value
      - .offset:         1256
        .size:           8
        .value_kind:     by_value
      - .offset:         1264
        .size:           8
        .value_kind:     by_value
      - .offset:         1272
        .size:           8
        .value_kind:     by_value
      - .offset:         1280
        .size:           416
        .value_kind:     by_value
      - .offset:         1696
        .size:           4
        .value_kind:     hidden_block_count_x
      - .offset:         1700
        .size:           4
        .value_kind:     hidden_block_count_y
      - .offset:         1704
        .size:           4
        .value_kind:     hidden_block_count_z
      - .offset:         1708
        .size:           2
        .value_kind:     hidden_group_size_x
      - .offset:         1710
        .size:           2
        .value_kind:     hidden_group_size_y
      - .offset:         1712
        .size:           2
        .value_kind:     hidden_group_size_z
      - .offset:         1714
        .size:           2
        .value_kind:     hidden_remainder_x
      - .offset:         1716
        .size:           2
        .value_kind:     hidden_remainder_y
      - .offset:         1718
        .size:           2
        .value_kind:     hidden_remainder_z
      - .offset:         1736
        .size:           8
        .value_kind:     hidden_global_offset_x
      - .offset:         1744
        .size:           8
        .value_kind:     hidden_global_offset_y
      - .offset:         1752
        .size:           8
        .value_kind:     hidden_global_offset_z
      - .offset:         1760
        .size:           2
        .value_kind:     hidden_grid_dims
      - .offset:         1816
        .size:           4
        .value_kind:     hidden_dynamic_lds_size
    .group_segment_fixed_size: 0
    .kernarg_segment_align: 8
    .kernarg_segment_size: 1952
    .language:       OpenCL C
    .language_version:
      - 2
      - 0
    .max_flat_workgroup_size: 512
    .name:           _ZN2at4cuda17kernelHistogram1DIfhlLi1ELi2ELin1ELNS0_23CUDAHistogramMemoryTypeE0EZNS0_21CUDA_tensor_histogramIfhLb1EEEbNS_6TensorES4_S4_lNS_14AccumulateTypeIT0_Lb1EE4typeES8_NS0_13TensorArgTypeES9_S9_EUllE_EEvNS0_6detail10TensorInfoIT_T1_EESF_NSC_IKS6_SE_EElS8_S8_SE_T6_
    .private_segment_fixed_size: 0
    .sgpr_count:     54
    .sgpr_spill_count: 0
    .symbol:         _ZN2at4cuda17kernelHistogram1DIfhlLi1ELi2ELin1ELNS0_23CUDAHistogramMemoryTypeE0EZNS0_21CUDA_tensor_histogramIfhLb1EEEbNS_6TensorES4_S4_lNS_14AccumulateTypeIT0_Lb1EE4typeES8_NS0_13TensorArgTypeES9_S9_EUllE_EEvNS0_6detail10TensorInfoIT_T1_EESF_NSC_IKS6_SE_EElS8_S8_SE_T6_.kd
    .uniform_work_group_size: 1
    .uses_dynamic_stack: false
    .vgpr_count:     22
    .vgpr_spill_count: 0
    .wavefront_size: 64
  - .agpr_count:     0
    .args:
      - .offset:         0
        .size:           416
        .value_kind:     by_value
      - .offset:         416
        .size:           416
        .value_kind:     by_value
      - .offset:         832
        .size:           416
        .value_kind:     by_value
      - .offset:         1248
        .size:           8
        .value_kind:     by_value
      - .offset:         1256
        .size:           8
        .value_kind:     by_value
      - .offset:         1264
        .size:           8
        .value_kind:     by_value
      - .offset:         1272
        .size:           8
        .value_kind:     by_value
      - .offset:         1280
        .size:           416
        .value_kind:     by_value
      - .offset:         1696
        .size:           4
        .value_kind:     hidden_block_count_x
      - .offset:         1700
        .size:           4
        .value_kind:     hidden_block_count_y
      - .offset:         1704
        .size:           4
        .value_kind:     hidden_block_count_z
      - .offset:         1708
        .size:           2
        .value_kind:     hidden_group_size_x
      - .offset:         1710
        .size:           2
        .value_kind:     hidden_group_size_y
      - .offset:         1712
        .size:           2
        .value_kind:     hidden_group_size_z
      - .offset:         1714
        .size:           2
        .value_kind:     hidden_remainder_x
      - .offset:         1716
        .size:           2
        .value_kind:     hidden_remainder_y
      - .offset:         1718
        .size:           2
        .value_kind:     hidden_remainder_z
      - .offset:         1736
        .size:           8
        .value_kind:     hidden_global_offset_x
      - .offset:         1744
        .size:           8
        .value_kind:     hidden_global_offset_y
      - .offset:         1752
        .size:           8
        .value_kind:     hidden_global_offset_z
      - .offset:         1760
        .size:           2
        .value_kind:     hidden_grid_dims
    .group_segment_fixed_size: 0
    .kernarg_segment_align: 8
    .kernarg_segment_size: 1952
    .language:       OpenCL C
    .language_version:
      - 2
      - 0
    .max_flat_workgroup_size: 512
    .name:           _ZN2at4cuda17kernelHistogram1DIfhlLi1ELi2ELin1ELNS0_23CUDAHistogramMemoryTypeE1EZNS0_21CUDA_tensor_histogramIfhLb1EEEbNS_6TensorES4_S4_lNS_14AccumulateTypeIT0_Lb1EE4typeES8_NS0_13TensorArgTypeES9_S9_EUllE_EEvNS0_6detail10TensorInfoIT_T1_EESF_NSC_IKS6_SE_EElS8_S8_SE_T6_
    .private_segment_fixed_size: 0
    .sgpr_count:     49
    .sgpr_spill_count: 0
    .symbol:         _ZN2at4cuda17kernelHistogram1DIfhlLi1ELi2ELin1ELNS0_23CUDAHistogramMemoryTypeE1EZNS0_21CUDA_tensor_histogramIfhLb1EEEbNS_6TensorES4_S4_lNS_14AccumulateTypeIT0_Lb1EE4typeES8_NS0_13TensorArgTypeES9_S9_EUllE_EEvNS0_6detail10TensorInfoIT_T1_EESF_NSC_IKS6_SE_EElS8_S8_SE_T6_.kd
    .uniform_work_group_size: 1
    .uses_dynamic_stack: false
    .vgpr_count:     18
    .vgpr_spill_count: 0
    .wavefront_size: 64
  - .agpr_count:     0
    .args:
      - .offset:         0
        .size:           416
        .value_kind:     by_value
      - .offset:         416
        .size:           416
        .value_kind:     by_value
      - .offset:         832
        .size:           416
        .value_kind:     by_value
      - .offset:         1248
        .size:           8
        .value_kind:     by_value
      - .offset:         1256
        .size:           8
        .value_kind:     by_value
      - .offset:         1264
        .size:           8
        .value_kind:     by_value
      - .offset:         1272
        .size:           8
        .value_kind:     by_value
      - .offset:         1280
        .size:           1
        .value_kind:     by_value
      - .offset:         1288
        .size:           4
        .value_kind:     hidden_block_count_x
      - .offset:         1292
        .size:           4
        .value_kind:     hidden_block_count_y
      - .offset:         1296
        .size:           4
        .value_kind:     hidden_block_count_z
      - .offset:         1300
        .size:           2
        .value_kind:     hidden_group_size_x
      - .offset:         1302
        .size:           2
        .value_kind:     hidden_group_size_y
      - .offset:         1304
        .size:           2
        .value_kind:     hidden_group_size_z
      - .offset:         1306
        .size:           2
        .value_kind:     hidden_remainder_x
      - .offset:         1308
        .size:           2
        .value_kind:     hidden_remainder_y
      - .offset:         1310
        .size:           2
        .value_kind:     hidden_remainder_z
      - .offset:         1328
        .size:           8
        .value_kind:     hidden_global_offset_x
      - .offset:         1336
        .size:           8
        .value_kind:     hidden_global_offset_y
      - .offset:         1344
        .size:           8
        .value_kind:     hidden_global_offset_z
      - .offset:         1352
        .size:           2
        .value_kind:     hidden_grid_dims
      - .offset:         1408
        .size:           4
        .value_kind:     hidden_dynamic_lds_size
    .group_segment_fixed_size: 0
    .kernarg_segment_align: 8
    .kernarg_segment_size: 1544
    .language:       OpenCL C
    .language_version:
      - 2
      - 0
    .max_flat_workgroup_size: 512
    .name:           _ZN2at4cuda17kernelHistogram1DIfhlLi1ELi2ELin1ELNS0_23CUDAHistogramMemoryTypeE0EZNS0_21CUDA_tensor_histogramIfhLb1EEEbNS_6TensorES4_S4_lNS_14AccumulateTypeIT0_Lb1EE4typeES8_NS0_13TensorArgTypeES9_S9_EUllE0_EEvNS0_6detail10TensorInfoIT_T1_EESF_NSC_IKS6_SE_EElS8_S8_SE_T6_
    .private_segment_fixed_size: 0
    .sgpr_count:     50
    .sgpr_spill_count: 0
    .symbol:         _ZN2at4cuda17kernelHistogram1DIfhlLi1ELi2ELin1ELNS0_23CUDAHistogramMemoryTypeE0EZNS0_21CUDA_tensor_histogramIfhLb1EEEbNS_6TensorES4_S4_lNS_14AccumulateTypeIT0_Lb1EE4typeES8_NS0_13TensorArgTypeES9_S9_EUllE0_EEvNS0_6detail10TensorInfoIT_T1_EESF_NSC_IKS6_SE_EElS8_S8_SE_T6_.kd
    .uniform_work_group_size: 1
    .uses_dynamic_stack: false
    .vgpr_count:     23
    .vgpr_spill_count: 0
    .wavefront_size: 64
  - .agpr_count:     0
    .args:
      - .offset:         0
        .size:           416
        .value_kind:     by_value
      - .offset:         416
        .size:           416
        .value_kind:     by_value
      - .offset:         832
        .size:           416
        .value_kind:     by_value
      - .offset:         1248
        .size:           8
        .value_kind:     by_value
      - .offset:         1256
        .size:           8
        .value_kind:     by_value
      - .offset:         1264
        .size:           8
        .value_kind:     by_value
      - .offset:         1272
        .size:           8
        .value_kind:     by_value
      - .offset:         1280
        .size:           1
        .value_kind:     by_value
      - .offset:         1288
        .size:           4
        .value_kind:     hidden_block_count_x
      - .offset:         1292
        .size:           4
        .value_kind:     hidden_block_count_y
      - .offset:         1296
        .size:           4
        .value_kind:     hidden_block_count_z
      - .offset:         1300
        .size:           2
        .value_kind:     hidden_group_size_x
      - .offset:         1302
        .size:           2
        .value_kind:     hidden_group_size_y
      - .offset:         1304
        .size:           2
        .value_kind:     hidden_group_size_z
      - .offset:         1306
        .size:           2
        .value_kind:     hidden_remainder_x
      - .offset:         1308
        .size:           2
        .value_kind:     hidden_remainder_y
      - .offset:         1310
        .size:           2
        .value_kind:     hidden_remainder_z
      - .offset:         1328
        .size:           8
        .value_kind:     hidden_global_offset_x
      - .offset:         1336
        .size:           8
        .value_kind:     hidden_global_offset_y
      - .offset:         1344
        .size:           8
        .value_kind:     hidden_global_offset_z
      - .offset:         1352
        .size:           2
        .value_kind:     hidden_grid_dims
    .group_segment_fixed_size: 0
    .kernarg_segment_align: 8
    .kernarg_segment_size: 1544
    .language:       OpenCL C
    .language_version:
      - 2
      - 0
    .max_flat_workgroup_size: 512
    .name:           _ZN2at4cuda17kernelHistogram1DIfhlLi1ELi2ELin1ELNS0_23CUDAHistogramMemoryTypeE1EZNS0_21CUDA_tensor_histogramIfhLb1EEEbNS_6TensorES4_S4_lNS_14AccumulateTypeIT0_Lb1EE4typeES8_NS0_13TensorArgTypeES9_S9_EUllE0_EEvNS0_6detail10TensorInfoIT_T1_EESF_NSC_IKS6_SE_EElS8_S8_SE_T6_
    .private_segment_fixed_size: 0
    .sgpr_count:     45
    .sgpr_spill_count: 0
    .symbol:         _ZN2at4cuda17kernelHistogram1DIfhlLi1ELi2ELin1ELNS0_23CUDAHistogramMemoryTypeE1EZNS0_21CUDA_tensor_histogramIfhLb1EEEbNS_6TensorES4_S4_lNS_14AccumulateTypeIT0_Lb1EE4typeES8_NS0_13TensorArgTypeES9_S9_EUllE0_EEvNS0_6detail10TensorInfoIT_T1_EESF_NSC_IKS6_SE_EElS8_S8_SE_T6_.kd
    .uniform_work_group_size: 1
    .uses_dynamic_stack: false
    .vgpr_count:     19
    .vgpr_spill_count: 0
    .wavefront_size: 64
  - .agpr_count:     0
    .args:
      - .offset:         0
        .size:           416
        .value_kind:     by_value
      - .offset:         416
        .size:           416
        .value_kind:     by_value
      - .offset:         832
        .size:           416
        .value_kind:     by_value
      - .offset:         1248
        .size:           8
        .value_kind:     by_value
      - .offset:         1256
        .size:           8
        .value_kind:     by_value
      - .offset:         1264
        .size:           8
        .value_kind:     by_value
      - .offset:         1272
        .size:           8
        .value_kind:     by_value
      - .offset:         1280
        .size:           416
        .value_kind:     by_value
      - .offset:         1696
        .size:           4
        .value_kind:     hidden_block_count_x
      - .offset:         1700
        .size:           4
        .value_kind:     hidden_block_count_y
      - .offset:         1704
        .size:           4
        .value_kind:     hidden_block_count_z
      - .offset:         1708
        .size:           2
        .value_kind:     hidden_group_size_x
      - .offset:         1710
        .size:           2
        .value_kind:     hidden_group_size_y
      - .offset:         1712
        .size:           2
        .value_kind:     hidden_group_size_z
      - .offset:         1714
        .size:           2
        .value_kind:     hidden_remainder_x
      - .offset:         1716
        .size:           2
        .value_kind:     hidden_remainder_y
      - .offset:         1718
        .size:           2
        .value_kind:     hidden_remainder_z
      - .offset:         1736
        .size:           8
        .value_kind:     hidden_global_offset_x
      - .offset:         1744
        .size:           8
        .value_kind:     hidden_global_offset_y
      - .offset:         1752
        .size:           8
        .value_kind:     hidden_global_offset_z
      - .offset:         1760
        .size:           2
        .value_kind:     hidden_grid_dims
      - .offset:         1816
        .size:           4
        .value_kind:     hidden_dynamic_lds_size
    .group_segment_fixed_size: 0
    .kernarg_segment_align: 8
    .kernarg_segment_size: 1952
    .language:       OpenCL C
    .language_version:
      - 2
      - 0
    .max_flat_workgroup_size: 512
    .name:           _ZN2at4cuda17kernelHistogram1DIlhlLi1ELi2ELin1ELNS0_23CUDAHistogramMemoryTypeE0EZNS0_21CUDA_tensor_histogramIlhLb0EEEbNS_6TensorES4_S4_lNS_14AccumulateTypeIT0_Lb1EE4typeES8_NS0_13TensorArgTypeES9_S9_EUllE_EEvNS0_6detail10TensorInfoIT_T1_EESF_NSC_IKS6_SE_EElS8_S8_SE_T6_
    .private_segment_fixed_size: 0
    .sgpr_count:     54
    .sgpr_spill_count: 0
    .symbol:         _ZN2at4cuda17kernelHistogram1DIlhlLi1ELi2ELin1ELNS0_23CUDAHistogramMemoryTypeE0EZNS0_21CUDA_tensor_histogramIlhLb0EEEbNS_6TensorES4_S4_lNS_14AccumulateTypeIT0_Lb1EE4typeES8_NS0_13TensorArgTypeES9_S9_EUllE_EEvNS0_6detail10TensorInfoIT_T1_EESF_NSC_IKS6_SE_EElS8_S8_SE_T6_.kd
    .uniform_work_group_size: 1
    .uses_dynamic_stack: false
    .vgpr_count:     24
    .vgpr_spill_count: 0
    .wavefront_size: 64
  - .agpr_count:     0
    .args:
      - .offset:         0
        .size:           416
        .value_kind:     by_value
      - .offset:         416
        .size:           416
        .value_kind:     by_value
      - .offset:         832
        .size:           416
        .value_kind:     by_value
      - .offset:         1248
        .size:           8
        .value_kind:     by_value
      - .offset:         1256
        .size:           8
        .value_kind:     by_value
      - .offset:         1264
        .size:           8
        .value_kind:     by_value
      - .offset:         1272
        .size:           8
        .value_kind:     by_value
      - .offset:         1280
        .size:           416
        .value_kind:     by_value
      - .offset:         1696
        .size:           4
        .value_kind:     hidden_block_count_x
      - .offset:         1700
        .size:           4
        .value_kind:     hidden_block_count_y
      - .offset:         1704
        .size:           4
        .value_kind:     hidden_block_count_z
      - .offset:         1708
        .size:           2
        .value_kind:     hidden_group_size_x
      - .offset:         1710
        .size:           2
        .value_kind:     hidden_group_size_y
      - .offset:         1712
        .size:           2
        .value_kind:     hidden_group_size_z
      - .offset:         1714
        .size:           2
        .value_kind:     hidden_remainder_x
      - .offset:         1716
        .size:           2
        .value_kind:     hidden_remainder_y
      - .offset:         1718
        .size:           2
        .value_kind:     hidden_remainder_z
      - .offset:         1736
        .size:           8
        .value_kind:     hidden_global_offset_x
      - .offset:         1744
        .size:           8
        .value_kind:     hidden_global_offset_y
      - .offset:         1752
        .size:           8
        .value_kind:     hidden_global_offset_z
      - .offset:         1760
        .size:           2
        .value_kind:     hidden_grid_dims
    .group_segment_fixed_size: 0
    .kernarg_segment_align: 8
    .kernarg_segment_size: 1952
    .language:       OpenCL C
    .language_version:
      - 2
      - 0
    .max_flat_workgroup_size: 512
    .name:           _ZN2at4cuda17kernelHistogram1DIlhlLi1ELi2ELin1ELNS0_23CUDAHistogramMemoryTypeE1EZNS0_21CUDA_tensor_histogramIlhLb0EEEbNS_6TensorES4_S4_lNS_14AccumulateTypeIT0_Lb1EE4typeES8_NS0_13TensorArgTypeES9_S9_EUllE_EEvNS0_6detail10TensorInfoIT_T1_EESF_NSC_IKS6_SE_EElS8_S8_SE_T6_
    .private_segment_fixed_size: 0
    .sgpr_count:     49
    .sgpr_spill_count: 0
    .symbol:         _ZN2at4cuda17kernelHistogram1DIlhlLi1ELi2ELin1ELNS0_23CUDAHistogramMemoryTypeE1EZNS0_21CUDA_tensor_histogramIlhLb0EEEbNS_6TensorES4_S4_lNS_14AccumulateTypeIT0_Lb1EE4typeES8_NS0_13TensorArgTypeES9_S9_EUllE_EEvNS0_6detail10TensorInfoIT_T1_EESF_NSC_IKS6_SE_EElS8_S8_SE_T6_.kd
    .uniform_work_group_size: 1
    .uses_dynamic_stack: false
    .vgpr_count:     18
    .vgpr_spill_count: 0
    .wavefront_size: 64
  - .agpr_count:     0
    .args:
      - .offset:         0
        .size:           416
        .value_kind:     by_value
      - .offset:         416
        .size:           416
        .value_kind:     by_value
      - .offset:         832
        .size:           416
        .value_kind:     by_value
      - .offset:         1248
        .size:           8
        .value_kind:     by_value
      - .offset:         1256
        .size:           8
        .value_kind:     by_value
      - .offset:         1264
        .size:           8
        .value_kind:     by_value
      - .offset:         1272
        .size:           8
        .value_kind:     by_value
      - .offset:         1280
        .size:           1
        .value_kind:     by_value
      - .offset:         1288
        .size:           4
        .value_kind:     hidden_block_count_x
      - .offset:         1292
        .size:           4
        .value_kind:     hidden_block_count_y
      - .offset:         1296
        .size:           4
        .value_kind:     hidden_block_count_z
      - .offset:         1300
        .size:           2
        .value_kind:     hidden_group_size_x
      - .offset:         1302
        .size:           2
        .value_kind:     hidden_group_size_y
      - .offset:         1304
        .size:           2
        .value_kind:     hidden_group_size_z
      - .offset:         1306
        .size:           2
        .value_kind:     hidden_remainder_x
      - .offset:         1308
        .size:           2
        .value_kind:     hidden_remainder_y
      - .offset:         1310
        .size:           2
        .value_kind:     hidden_remainder_z
      - .offset:         1328
        .size:           8
        .value_kind:     hidden_global_offset_x
      - .offset:         1336
        .size:           8
        .value_kind:     hidden_global_offset_y
      - .offset:         1344
        .size:           8
        .value_kind:     hidden_global_offset_z
      - .offset:         1352
        .size:           2
        .value_kind:     hidden_grid_dims
      - .offset:         1408
        .size:           4
        .value_kind:     hidden_dynamic_lds_size
    .group_segment_fixed_size: 0
    .kernarg_segment_align: 8
    .kernarg_segment_size: 1544
    .language:       OpenCL C
    .language_version:
      - 2
      - 0
    .max_flat_workgroup_size: 512
    .name:           _ZN2at4cuda17kernelHistogram1DIlhlLi1ELi2ELin1ELNS0_23CUDAHistogramMemoryTypeE0EZNS0_21CUDA_tensor_histogramIlhLb0EEEbNS_6TensorES4_S4_lNS_14AccumulateTypeIT0_Lb1EE4typeES8_NS0_13TensorArgTypeES9_S9_EUllE0_EEvNS0_6detail10TensorInfoIT_T1_EESF_NSC_IKS6_SE_EElS8_S8_SE_T6_
    .private_segment_fixed_size: 0
    .sgpr_count:     50
    .sgpr_spill_count: 0
    .symbol:         _ZN2at4cuda17kernelHistogram1DIlhlLi1ELi2ELin1ELNS0_23CUDAHistogramMemoryTypeE0EZNS0_21CUDA_tensor_histogramIlhLb0EEEbNS_6TensorES4_S4_lNS_14AccumulateTypeIT0_Lb1EE4typeES8_NS0_13TensorArgTypeES9_S9_EUllE0_EEvNS0_6detail10TensorInfoIT_T1_EESF_NSC_IKS6_SE_EElS8_S8_SE_T6_.kd
    .uniform_work_group_size: 1
    .uses_dynamic_stack: false
    .vgpr_count:     24
    .vgpr_spill_count: 0
    .wavefront_size: 64
  - .agpr_count:     0
    .args:
      - .offset:         0
        .size:           416
        .value_kind:     by_value
      - .offset:         416
        .size:           416
        .value_kind:     by_value
      - .offset:         832
        .size:           416
        .value_kind:     by_value
      - .offset:         1248
        .size:           8
        .value_kind:     by_value
      - .offset:         1256
        .size:           8
        .value_kind:     by_value
      - .offset:         1264
        .size:           8
        .value_kind:     by_value
      - .offset:         1272
        .size:           8
        .value_kind:     by_value
      - .offset:         1280
        .size:           1
        .value_kind:     by_value
      - .offset:         1288
        .size:           4
        .value_kind:     hidden_block_count_x
      - .offset:         1292
        .size:           4
        .value_kind:     hidden_block_count_y
      - .offset:         1296
        .size:           4
        .value_kind:     hidden_block_count_z
      - .offset:         1300
        .size:           2
        .value_kind:     hidden_group_size_x
      - .offset:         1302
        .size:           2
        .value_kind:     hidden_group_size_y
      - .offset:         1304
        .size:           2
        .value_kind:     hidden_group_size_z
      - .offset:         1306
        .size:           2
        .value_kind:     hidden_remainder_x
      - .offset:         1308
        .size:           2
        .value_kind:     hidden_remainder_y
      - .offset:         1310
        .size:           2
        .value_kind:     hidden_remainder_z
      - .offset:         1328
        .size:           8
        .value_kind:     hidden_global_offset_x
      - .offset:         1336
        .size:           8
        .value_kind:     hidden_global_offset_y
      - .offset:         1344
        .size:           8
        .value_kind:     hidden_global_offset_z
      - .offset:         1352
        .size:           2
        .value_kind:     hidden_grid_dims
    .group_segment_fixed_size: 0
    .kernarg_segment_align: 8
    .kernarg_segment_size: 1544
    .language:       OpenCL C
    .language_version:
      - 2
      - 0
    .max_flat_workgroup_size: 512
    .name:           _ZN2at4cuda17kernelHistogram1DIlhlLi1ELi2ELin1ELNS0_23CUDAHistogramMemoryTypeE1EZNS0_21CUDA_tensor_histogramIlhLb0EEEbNS_6TensorES4_S4_lNS_14AccumulateTypeIT0_Lb1EE4typeES8_NS0_13TensorArgTypeES9_S9_EUllE0_EEvNS0_6detail10TensorInfoIT_T1_EESF_NSC_IKS6_SE_EElS8_S8_SE_T6_
    .private_segment_fixed_size: 0
    .sgpr_count:     45
    .sgpr_spill_count: 0
    .symbol:         _ZN2at4cuda17kernelHistogram1DIlhlLi1ELi2ELin1ELNS0_23CUDAHistogramMemoryTypeE1EZNS0_21CUDA_tensor_histogramIlhLb0EEEbNS_6TensorES4_S4_lNS_14AccumulateTypeIT0_Lb1EE4typeES8_NS0_13TensorArgTypeES9_S9_EUllE0_EEvNS0_6detail10TensorInfoIT_T1_EESF_NSC_IKS6_SE_EElS8_S8_SE_T6_.kd
    .uniform_work_group_size: 1
    .uses_dynamic_stack: false
    .vgpr_count:     18
    .vgpr_spill_count: 0
    .wavefront_size: 64
  - .agpr_count:     0
    .args:
      - .offset:         0
        .size:           416
        .value_kind:     by_value
      - .offset:         416
        .size:           416
        .value_kind:     by_value
      - .offset:         832
        .size:           416
        .value_kind:     by_value
      - .offset:         1248
        .size:           8
        .value_kind:     by_value
      - .offset:         1256
        .size:           8
        .value_kind:     by_value
      - .offset:         1264
        .size:           8
        .value_kind:     by_value
      - .offset:         1272
        .size:           8
        .value_kind:     by_value
      - .offset:         1280
        .size:           416
        .value_kind:     by_value
      - .offset:         1696
        .size:           4
        .value_kind:     hidden_block_count_x
      - .offset:         1700
        .size:           4
        .value_kind:     hidden_block_count_y
      - .offset:         1704
        .size:           4
        .value_kind:     hidden_block_count_z
      - .offset:         1708
        .size:           2
        .value_kind:     hidden_group_size_x
      - .offset:         1710
        .size:           2
        .value_kind:     hidden_group_size_y
      - .offset:         1712
        .size:           2
        .value_kind:     hidden_group_size_z
      - .offset:         1714
        .size:           2
        .value_kind:     hidden_remainder_x
      - .offset:         1716
        .size:           2
        .value_kind:     hidden_remainder_y
      - .offset:         1718
        .size:           2
        .value_kind:     hidden_remainder_z
      - .offset:         1736
        .size:           8
        .value_kind:     hidden_global_offset_x
      - .offset:         1744
        .size:           8
        .value_kind:     hidden_global_offset_y
      - .offset:         1752
        .size:           8
        .value_kind:     hidden_global_offset_z
      - .offset:         1760
        .size:           2
        .value_kind:     hidden_grid_dims
      - .offset:         1816
        .size:           4
        .value_kind:     hidden_dynamic_lds_size
    .group_segment_fixed_size: 0
    .kernarg_segment_align: 8
    .kernarg_segment_size: 1952
    .language:       OpenCL C
    .language_version:
      - 2
      - 0
    .max_flat_workgroup_size: 512
    .name:           _ZN2at4cuda17kernelHistogram1DIdhlLi1ELi2ELin1ELNS0_23CUDAHistogramMemoryTypeE0EZNS0_21CUDA_tensor_histogramIdhLb1EEEbNS_6TensorES4_S4_lNS_14AccumulateTypeIT0_Lb1EE4typeES8_NS0_13TensorArgTypeES9_S9_EUllE_EEvNS0_6detail10TensorInfoIT_T1_EESF_NSC_IKS6_SE_EElS8_S8_SE_T6_
    .private_segment_fixed_size: 0
    .sgpr_count:     56
    .sgpr_spill_count: 0
    .symbol:         _ZN2at4cuda17kernelHistogram1DIdhlLi1ELi2ELin1ELNS0_23CUDAHistogramMemoryTypeE0EZNS0_21CUDA_tensor_histogramIdhLb1EEEbNS_6TensorES4_S4_lNS_14AccumulateTypeIT0_Lb1EE4typeES8_NS0_13TensorArgTypeES9_S9_EUllE_EEvNS0_6detail10TensorInfoIT_T1_EESF_NSC_IKS6_SE_EElS8_S8_SE_T6_.kd
    .uniform_work_group_size: 1
    .uses_dynamic_stack: false
    .vgpr_count:     24
    .vgpr_spill_count: 0
    .wavefront_size: 64
  - .agpr_count:     0
    .args:
      - .offset:         0
        .size:           416
        .value_kind:     by_value
      - .offset:         416
        .size:           416
        .value_kind:     by_value
      - .offset:         832
        .size:           416
        .value_kind:     by_value
      - .offset:         1248
        .size:           8
        .value_kind:     by_value
      - .offset:         1256
        .size:           8
        .value_kind:     by_value
      - .offset:         1264
        .size:           8
        .value_kind:     by_value
      - .offset:         1272
        .size:           8
        .value_kind:     by_value
      - .offset:         1280
        .size:           416
        .value_kind:     by_value
      - .offset:         1696
        .size:           4
        .value_kind:     hidden_block_count_x
      - .offset:         1700
        .size:           4
        .value_kind:     hidden_block_count_y
      - .offset:         1704
        .size:           4
        .value_kind:     hidden_block_count_z
      - .offset:         1708
        .size:           2
        .value_kind:     hidden_group_size_x
      - .offset:         1710
        .size:           2
        .value_kind:     hidden_group_size_y
      - .offset:         1712
        .size:           2
        .value_kind:     hidden_group_size_z
      - .offset:         1714
        .size:           2
        .value_kind:     hidden_remainder_x
      - .offset:         1716
        .size:           2
        .value_kind:     hidden_remainder_y
      - .offset:         1718
        .size:           2
        .value_kind:     hidden_remainder_z
      - .offset:         1736
        .size:           8
        .value_kind:     hidden_global_offset_x
      - .offset:         1744
        .size:           8
        .value_kind:     hidden_global_offset_y
      - .offset:         1752
        .size:           8
        .value_kind:     hidden_global_offset_z
      - .offset:         1760
        .size:           2
        .value_kind:     hidden_grid_dims
    .group_segment_fixed_size: 0
    .kernarg_segment_align: 8
    .kernarg_segment_size: 1952
    .language:       OpenCL C
    .language_version:
      - 2
      - 0
    .max_flat_workgroup_size: 512
    .name:           _ZN2at4cuda17kernelHistogram1DIdhlLi1ELi2ELin1ELNS0_23CUDAHistogramMemoryTypeE1EZNS0_21CUDA_tensor_histogramIdhLb1EEEbNS_6TensorES4_S4_lNS_14AccumulateTypeIT0_Lb1EE4typeES8_NS0_13TensorArgTypeES9_S9_EUllE_EEvNS0_6detail10TensorInfoIT_T1_EESF_NSC_IKS6_SE_EElS8_S8_SE_T6_
    .private_segment_fixed_size: 0
    .sgpr_count:     49
    .sgpr_spill_count: 0
    .symbol:         _ZN2at4cuda17kernelHistogram1DIdhlLi1ELi2ELin1ELNS0_23CUDAHistogramMemoryTypeE1EZNS0_21CUDA_tensor_histogramIdhLb1EEEbNS_6TensorES4_S4_lNS_14AccumulateTypeIT0_Lb1EE4typeES8_NS0_13TensorArgTypeES9_S9_EUllE_EEvNS0_6detail10TensorInfoIT_T1_EESF_NSC_IKS6_SE_EElS8_S8_SE_T6_.kd
    .uniform_work_group_size: 1
    .uses_dynamic_stack: false
    .vgpr_count:     18
    .vgpr_spill_count: 0
    .wavefront_size: 64
  - .agpr_count:     0
    .args:
      - .offset:         0
        .size:           416
        .value_kind:     by_value
      - .offset:         416
        .size:           416
        .value_kind:     by_value
      - .offset:         832
        .size:           416
        .value_kind:     by_value
      - .offset:         1248
        .size:           8
        .value_kind:     by_value
      - .offset:         1256
        .size:           8
        .value_kind:     by_value
      - .offset:         1264
        .size:           8
        .value_kind:     by_value
      - .offset:         1272
        .size:           8
        .value_kind:     by_value
      - .offset:         1280
        .size:           1
        .value_kind:     by_value
      - .offset:         1288
        .size:           4
        .value_kind:     hidden_block_count_x
      - .offset:         1292
        .size:           4
        .value_kind:     hidden_block_count_y
      - .offset:         1296
        .size:           4
        .value_kind:     hidden_block_count_z
      - .offset:         1300
        .size:           2
        .value_kind:     hidden_group_size_x
      - .offset:         1302
        .size:           2
        .value_kind:     hidden_group_size_y
      - .offset:         1304
        .size:           2
        .value_kind:     hidden_group_size_z
      - .offset:         1306
        .size:           2
        .value_kind:     hidden_remainder_x
      - .offset:         1308
        .size:           2
        .value_kind:     hidden_remainder_y
      - .offset:         1310
        .size:           2
        .value_kind:     hidden_remainder_z
      - .offset:         1328
        .size:           8
        .value_kind:     hidden_global_offset_x
      - .offset:         1336
        .size:           8
        .value_kind:     hidden_global_offset_y
      - .offset:         1344
        .size:           8
        .value_kind:     hidden_global_offset_z
      - .offset:         1352
        .size:           2
        .value_kind:     hidden_grid_dims
      - .offset:         1408
        .size:           4
        .value_kind:     hidden_dynamic_lds_size
    .group_segment_fixed_size: 0
    .kernarg_segment_align: 8
    .kernarg_segment_size: 1544
    .language:       OpenCL C
    .language_version:
      - 2
      - 0
    .max_flat_workgroup_size: 512
    .name:           _ZN2at4cuda17kernelHistogram1DIdhlLi1ELi2ELin1ELNS0_23CUDAHistogramMemoryTypeE0EZNS0_21CUDA_tensor_histogramIdhLb1EEEbNS_6TensorES4_S4_lNS_14AccumulateTypeIT0_Lb1EE4typeES8_NS0_13TensorArgTypeES9_S9_EUllE0_EEvNS0_6detail10TensorInfoIT_T1_EESF_NSC_IKS6_SE_EElS8_S8_SE_T6_
    .private_segment_fixed_size: 0
    .sgpr_count:     52
    .sgpr_spill_count: 0
    .symbol:         _ZN2at4cuda17kernelHistogram1DIdhlLi1ELi2ELin1ELNS0_23CUDAHistogramMemoryTypeE0EZNS0_21CUDA_tensor_histogramIdhLb1EEEbNS_6TensorES4_S4_lNS_14AccumulateTypeIT0_Lb1EE4typeES8_NS0_13TensorArgTypeES9_S9_EUllE0_EEvNS0_6detail10TensorInfoIT_T1_EESF_NSC_IKS6_SE_EElS8_S8_SE_T6_.kd
    .uniform_work_group_size: 1
    .uses_dynamic_stack: false
    .vgpr_count:     24
    .vgpr_spill_count: 0
    .wavefront_size: 64
  - .agpr_count:     0
    .args:
      - .offset:         0
        .size:           416
        .value_kind:     by_value
      - .offset:         416
        .size:           416
        .value_kind:     by_value
      - .offset:         832
        .size:           416
        .value_kind:     by_value
      - .offset:         1248
        .size:           8
        .value_kind:     by_value
      - .offset:         1256
        .size:           8
        .value_kind:     by_value
      - .offset:         1264
        .size:           8
        .value_kind:     by_value
      - .offset:         1272
        .size:           8
        .value_kind:     by_value
      - .offset:         1280
        .size:           1
        .value_kind:     by_value
      - .offset:         1288
        .size:           4
        .value_kind:     hidden_block_count_x
      - .offset:         1292
        .size:           4
        .value_kind:     hidden_block_count_y
      - .offset:         1296
        .size:           4
        .value_kind:     hidden_block_count_z
      - .offset:         1300
        .size:           2
        .value_kind:     hidden_group_size_x
      - .offset:         1302
        .size:           2
        .value_kind:     hidden_group_size_y
      - .offset:         1304
        .size:           2
        .value_kind:     hidden_group_size_z
      - .offset:         1306
        .size:           2
        .value_kind:     hidden_remainder_x
      - .offset:         1308
        .size:           2
        .value_kind:     hidden_remainder_y
      - .offset:         1310
        .size:           2
        .value_kind:     hidden_remainder_z
      - .offset:         1328
        .size:           8
        .value_kind:     hidden_global_offset_x
      - .offset:         1336
        .size:           8
        .value_kind:     hidden_global_offset_y
      - .offset:         1344
        .size:           8
        .value_kind:     hidden_global_offset_z
      - .offset:         1352
        .size:           2
        .value_kind:     hidden_grid_dims
    .group_segment_fixed_size: 0
    .kernarg_segment_align: 8
    .kernarg_segment_size: 1544
    .language:       OpenCL C
    .language_version:
      - 2
      - 0
    .max_flat_workgroup_size: 512
    .name:           _ZN2at4cuda17kernelHistogram1DIdhlLi1ELi2ELin1ELNS0_23CUDAHistogramMemoryTypeE1EZNS0_21CUDA_tensor_histogramIdhLb1EEEbNS_6TensorES4_S4_lNS_14AccumulateTypeIT0_Lb1EE4typeES8_NS0_13TensorArgTypeES9_S9_EUllE0_EEvNS0_6detail10TensorInfoIT_T1_EESF_NSC_IKS6_SE_EElS8_S8_SE_T6_
    .private_segment_fixed_size: 0
    .sgpr_count:     45
    .sgpr_spill_count: 0
    .symbol:         _ZN2at4cuda17kernelHistogram1DIdhlLi1ELi2ELin1ELNS0_23CUDAHistogramMemoryTypeE1EZNS0_21CUDA_tensor_histogramIdhLb1EEEbNS_6TensorES4_S4_lNS_14AccumulateTypeIT0_Lb1EE4typeES8_NS0_13TensorArgTypeES9_S9_EUllE0_EEvNS0_6detail10TensorInfoIT_T1_EESF_NSC_IKS6_SE_EElS8_S8_SE_T6_.kd
    .uniform_work_group_size: 1
    .uses_dynamic_stack: false
    .vgpr_count:     18
    .vgpr_spill_count: 0
    .wavefront_size: 64
  - .agpr_count:     0
    .args:
      - .offset:         0
        .size:           416
        .value_kind:     by_value
      - .offset:         416
        .size:           416
        .value_kind:     by_value
      - .offset:         832
        .size:           416
        .value_kind:     by_value
      - .offset:         1248
        .size:           8
        .value_kind:     by_value
      - .offset:         1256
        .size:           8
        .value_kind:     by_value
      - .offset:         1264
        .size:           8
        .value_kind:     by_value
      - .offset:         1272
        .size:           8
        .value_kind:     by_value
      - .offset:         1280
        .size:           416
        .value_kind:     by_value
      - .offset:         1696
        .size:           4
        .value_kind:     hidden_block_count_x
      - .offset:         1700
        .size:           4
        .value_kind:     hidden_block_count_y
      - .offset:         1704
        .size:           4
        .value_kind:     hidden_block_count_z
      - .offset:         1708
        .size:           2
        .value_kind:     hidden_group_size_x
      - .offset:         1710
        .size:           2
        .value_kind:     hidden_group_size_y
      - .offset:         1712
        .size:           2
        .value_kind:     hidden_group_size_z
      - .offset:         1714
        .size:           2
        .value_kind:     hidden_remainder_x
      - .offset:         1716
        .size:           2
        .value_kind:     hidden_remainder_y
      - .offset:         1718
        .size:           2
        .value_kind:     hidden_remainder_z
      - .offset:         1736
        .size:           8
        .value_kind:     hidden_global_offset_x
      - .offset:         1744
        .size:           8
        .value_kind:     hidden_global_offset_y
      - .offset:         1752
        .size:           8
        .value_kind:     hidden_global_offset_z
      - .offset:         1760
        .size:           2
        .value_kind:     hidden_grid_dims
      - .offset:         1816
        .size:           4
        .value_kind:     hidden_dynamic_lds_size
    .group_segment_fixed_size: 0
    .kernarg_segment_align: 8
    .kernarg_segment_size: 1952
    .language:       OpenCL C
    .language_version:
      - 2
      - 0
    .max_flat_workgroup_size: 512
    .name:           _ZN2at4cuda17kernelHistogram1DIfalLi1ELi2ELin1ELNS0_23CUDAHistogramMemoryTypeE0EZNS0_21CUDA_tensor_histogramIfaLb1EEEbNS_6TensorES4_S4_lNS_14AccumulateTypeIT0_Lb1EE4typeES8_NS0_13TensorArgTypeES9_S9_EUllE_EEvNS0_6detail10TensorInfoIT_T1_EESF_NSC_IKS6_SE_EElS8_S8_SE_T6_
    .private_segment_fixed_size: 0
    .sgpr_count:     53
    .sgpr_spill_count: 0
    .symbol:         _ZN2at4cuda17kernelHistogram1DIfalLi1ELi2ELin1ELNS0_23CUDAHistogramMemoryTypeE0EZNS0_21CUDA_tensor_histogramIfaLb1EEEbNS_6TensorES4_S4_lNS_14AccumulateTypeIT0_Lb1EE4typeES8_NS0_13TensorArgTypeES9_S9_EUllE_EEvNS0_6detail10TensorInfoIT_T1_EESF_NSC_IKS6_SE_EElS8_S8_SE_T6_.kd
    .uniform_work_group_size: 1
    .uses_dynamic_stack: false
    .vgpr_count:     22
    .vgpr_spill_count: 0
    .wavefront_size: 64
  - .agpr_count:     0
    .args:
      - .offset:         0
        .size:           416
        .value_kind:     by_value
      - .offset:         416
        .size:           416
        .value_kind:     by_value
      - .offset:         832
        .size:           416
        .value_kind:     by_value
      - .offset:         1248
        .size:           8
        .value_kind:     by_value
      - .offset:         1256
        .size:           8
        .value_kind:     by_value
      - .offset:         1264
        .size:           8
        .value_kind:     by_value
      - .offset:         1272
        .size:           8
        .value_kind:     by_value
      - .offset:         1280
        .size:           416
        .value_kind:     by_value
      - .offset:         1696
        .size:           4
        .value_kind:     hidden_block_count_x
      - .offset:         1700
        .size:           4
        .value_kind:     hidden_block_count_y
      - .offset:         1704
        .size:           4
        .value_kind:     hidden_block_count_z
      - .offset:         1708
        .size:           2
        .value_kind:     hidden_group_size_x
      - .offset:         1710
        .size:           2
        .value_kind:     hidden_group_size_y
      - .offset:         1712
        .size:           2
        .value_kind:     hidden_group_size_z
      - .offset:         1714
        .size:           2
        .value_kind:     hidden_remainder_x
      - .offset:         1716
        .size:           2
        .value_kind:     hidden_remainder_y
      - .offset:         1718
        .size:           2
        .value_kind:     hidden_remainder_z
      - .offset:         1736
        .size:           8
        .value_kind:     hidden_global_offset_x
      - .offset:         1744
        .size:           8
        .value_kind:     hidden_global_offset_y
      - .offset:         1752
        .size:           8
        .value_kind:     hidden_global_offset_z
      - .offset:         1760
        .size:           2
        .value_kind:     hidden_grid_dims
    .group_segment_fixed_size: 0
    .kernarg_segment_align: 8
    .kernarg_segment_size: 1952
    .language:       OpenCL C
    .language_version:
      - 2
      - 0
    .max_flat_workgroup_size: 512
    .name:           _ZN2at4cuda17kernelHistogram1DIfalLi1ELi2ELin1ELNS0_23CUDAHistogramMemoryTypeE1EZNS0_21CUDA_tensor_histogramIfaLb1EEEbNS_6TensorES4_S4_lNS_14AccumulateTypeIT0_Lb1EE4typeES8_NS0_13TensorArgTypeES9_S9_EUllE_EEvNS0_6detail10TensorInfoIT_T1_EESF_NSC_IKS6_SE_EElS8_S8_SE_T6_
    .private_segment_fixed_size: 0
    .sgpr_count:     49
    .sgpr_spill_count: 0
    .symbol:         _ZN2at4cuda17kernelHistogram1DIfalLi1ELi2ELin1ELNS0_23CUDAHistogramMemoryTypeE1EZNS0_21CUDA_tensor_histogramIfaLb1EEEbNS_6TensorES4_S4_lNS_14AccumulateTypeIT0_Lb1EE4typeES8_NS0_13TensorArgTypeES9_S9_EUllE_EEvNS0_6detail10TensorInfoIT_T1_EESF_NSC_IKS6_SE_EElS8_S8_SE_T6_.kd
    .uniform_work_group_size: 1
    .uses_dynamic_stack: false
    .vgpr_count:     18
    .vgpr_spill_count: 0
    .wavefront_size: 64
  - .agpr_count:     0
    .args:
      - .offset:         0
        .size:           416
        .value_kind:     by_value
      - .offset:         416
        .size:           416
        .value_kind:     by_value
      - .offset:         832
        .size:           416
        .value_kind:     by_value
      - .offset:         1248
        .size:           8
        .value_kind:     by_value
      - .offset:         1256
        .size:           8
        .value_kind:     by_value
      - .offset:         1264
        .size:           8
        .value_kind:     by_value
      - .offset:         1272
        .size:           8
        .value_kind:     by_value
      - .offset:         1280
        .size:           1
        .value_kind:     by_value
      - .offset:         1288
        .size:           4
        .value_kind:     hidden_block_count_x
      - .offset:         1292
        .size:           4
        .value_kind:     hidden_block_count_y
      - .offset:         1296
        .size:           4
        .value_kind:     hidden_block_count_z
      - .offset:         1300
        .size:           2
        .value_kind:     hidden_group_size_x
      - .offset:         1302
        .size:           2
        .value_kind:     hidden_group_size_y
      - .offset:         1304
        .size:           2
        .value_kind:     hidden_group_size_z
      - .offset:         1306
        .size:           2
        .value_kind:     hidden_remainder_x
      - .offset:         1308
        .size:           2
        .value_kind:     hidden_remainder_y
      - .offset:         1310
        .size:           2
        .value_kind:     hidden_remainder_z
      - .offset:         1328
        .size:           8
        .value_kind:     hidden_global_offset_x
      - .offset:         1336
        .size:           8
        .value_kind:     hidden_global_offset_y
      - .offset:         1344
        .size:           8
        .value_kind:     hidden_global_offset_z
      - .offset:         1352
        .size:           2
        .value_kind:     hidden_grid_dims
      - .offset:         1408
        .size:           4
        .value_kind:     hidden_dynamic_lds_size
    .group_segment_fixed_size: 0
    .kernarg_segment_align: 8
    .kernarg_segment_size: 1544
    .language:       OpenCL C
    .language_version:
      - 2
      - 0
    .max_flat_workgroup_size: 512
    .name:           _ZN2at4cuda17kernelHistogram1DIfalLi1ELi2ELin1ELNS0_23CUDAHistogramMemoryTypeE0EZNS0_21CUDA_tensor_histogramIfaLb1EEEbNS_6TensorES4_S4_lNS_14AccumulateTypeIT0_Lb1EE4typeES8_NS0_13TensorArgTypeES9_S9_EUllE0_EEvNS0_6detail10TensorInfoIT_T1_EESF_NSC_IKS6_SE_EElS8_S8_SE_T6_
    .private_segment_fixed_size: 0
    .sgpr_count:     49
    .sgpr_spill_count: 0
    .symbol:         _ZN2at4cuda17kernelHistogram1DIfalLi1ELi2ELin1ELNS0_23CUDAHistogramMemoryTypeE0EZNS0_21CUDA_tensor_histogramIfaLb1EEEbNS_6TensorES4_S4_lNS_14AccumulateTypeIT0_Lb1EE4typeES8_NS0_13TensorArgTypeES9_S9_EUllE0_EEvNS0_6detail10TensorInfoIT_T1_EESF_NSC_IKS6_SE_EElS8_S8_SE_T6_.kd
    .uniform_work_group_size: 1
    .uses_dynamic_stack: false
    .vgpr_count:     23
    .vgpr_spill_count: 0
    .wavefront_size: 64
  - .agpr_count:     0
    .args:
      - .offset:         0
        .size:           416
        .value_kind:     by_value
      - .offset:         416
        .size:           416
        .value_kind:     by_value
      - .offset:         832
        .size:           416
        .value_kind:     by_value
      - .offset:         1248
        .size:           8
        .value_kind:     by_value
      - .offset:         1256
        .size:           8
        .value_kind:     by_value
      - .offset:         1264
        .size:           8
        .value_kind:     by_value
      - .offset:         1272
        .size:           8
        .value_kind:     by_value
      - .offset:         1280
        .size:           1
        .value_kind:     by_value
      - .offset:         1288
        .size:           4
        .value_kind:     hidden_block_count_x
      - .offset:         1292
        .size:           4
        .value_kind:     hidden_block_count_y
      - .offset:         1296
        .size:           4
        .value_kind:     hidden_block_count_z
      - .offset:         1300
        .size:           2
        .value_kind:     hidden_group_size_x
      - .offset:         1302
        .size:           2
        .value_kind:     hidden_group_size_y
      - .offset:         1304
        .size:           2
        .value_kind:     hidden_group_size_z
      - .offset:         1306
        .size:           2
        .value_kind:     hidden_remainder_x
      - .offset:         1308
        .size:           2
        .value_kind:     hidden_remainder_y
      - .offset:         1310
        .size:           2
        .value_kind:     hidden_remainder_z
      - .offset:         1328
        .size:           8
        .value_kind:     hidden_global_offset_x
      - .offset:         1336
        .size:           8
        .value_kind:     hidden_global_offset_y
      - .offset:         1344
        .size:           8
        .value_kind:     hidden_global_offset_z
      - .offset:         1352
        .size:           2
        .value_kind:     hidden_grid_dims
    .group_segment_fixed_size: 0
    .kernarg_segment_align: 8
    .kernarg_segment_size: 1544
    .language:       OpenCL C
    .language_version:
      - 2
      - 0
    .max_flat_workgroup_size: 512
    .name:           _ZN2at4cuda17kernelHistogram1DIfalLi1ELi2ELin1ELNS0_23CUDAHistogramMemoryTypeE1EZNS0_21CUDA_tensor_histogramIfaLb1EEEbNS_6TensorES4_S4_lNS_14AccumulateTypeIT0_Lb1EE4typeES8_NS0_13TensorArgTypeES9_S9_EUllE0_EEvNS0_6detail10TensorInfoIT_T1_EESF_NSC_IKS6_SE_EElS8_S8_SE_T6_
    .private_segment_fixed_size: 0
    .sgpr_count:     45
    .sgpr_spill_count: 0
    .symbol:         _ZN2at4cuda17kernelHistogram1DIfalLi1ELi2ELin1ELNS0_23CUDAHistogramMemoryTypeE1EZNS0_21CUDA_tensor_histogramIfaLb1EEEbNS_6TensorES4_S4_lNS_14AccumulateTypeIT0_Lb1EE4typeES8_NS0_13TensorArgTypeES9_S9_EUllE0_EEvNS0_6detail10TensorInfoIT_T1_EESF_NSC_IKS6_SE_EElS8_S8_SE_T6_.kd
    .uniform_work_group_size: 1
    .uses_dynamic_stack: false
    .vgpr_count:     19
    .vgpr_spill_count: 0
    .wavefront_size: 64
  - .agpr_count:     0
    .args:
      - .offset:         0
        .size:           416
        .value_kind:     by_value
      - .offset:         416
        .size:           416
        .value_kind:     by_value
      - .offset:         832
        .size:           416
        .value_kind:     by_value
      - .offset:         1248
        .size:           8
        .value_kind:     by_value
      - .offset:         1256
        .size:           8
        .value_kind:     by_value
      - .offset:         1264
        .size:           8
        .value_kind:     by_value
      - .offset:         1272
        .size:           8
        .value_kind:     by_value
      - .offset:         1280
        .size:           416
        .value_kind:     by_value
      - .offset:         1696
        .size:           4
        .value_kind:     hidden_block_count_x
      - .offset:         1700
        .size:           4
        .value_kind:     hidden_block_count_y
      - .offset:         1704
        .size:           4
        .value_kind:     hidden_block_count_z
      - .offset:         1708
        .size:           2
        .value_kind:     hidden_group_size_x
      - .offset:         1710
        .size:           2
        .value_kind:     hidden_group_size_y
      - .offset:         1712
        .size:           2
        .value_kind:     hidden_group_size_z
      - .offset:         1714
        .size:           2
        .value_kind:     hidden_remainder_x
      - .offset:         1716
        .size:           2
        .value_kind:     hidden_remainder_y
      - .offset:         1718
        .size:           2
        .value_kind:     hidden_remainder_z
      - .offset:         1736
        .size:           8
        .value_kind:     hidden_global_offset_x
      - .offset:         1744
        .size:           8
        .value_kind:     hidden_global_offset_y
      - .offset:         1752
        .size:           8
        .value_kind:     hidden_global_offset_z
      - .offset:         1760
        .size:           2
        .value_kind:     hidden_grid_dims
      - .offset:         1816
        .size:           4
        .value_kind:     hidden_dynamic_lds_size
    .group_segment_fixed_size: 0
    .kernarg_segment_align: 8
    .kernarg_segment_size: 1952
    .language:       OpenCL C
    .language_version:
      - 2
      - 0
    .max_flat_workgroup_size: 512
    .name:           _ZN2at4cuda17kernelHistogram1DIlalLi1ELi2ELin1ELNS0_23CUDAHistogramMemoryTypeE0EZNS0_21CUDA_tensor_histogramIlaLb0EEEbNS_6TensorES4_S4_lNS_14AccumulateTypeIT0_Lb1EE4typeES8_NS0_13TensorArgTypeES9_S9_EUllE_EEvNS0_6detail10TensorInfoIT_T1_EESF_NSC_IKS6_SE_EElS8_S8_SE_T6_
    .private_segment_fixed_size: 0
    .sgpr_count:     53
    .sgpr_spill_count: 0
    .symbol:         _ZN2at4cuda17kernelHistogram1DIlalLi1ELi2ELin1ELNS0_23CUDAHistogramMemoryTypeE0EZNS0_21CUDA_tensor_histogramIlaLb0EEEbNS_6TensorES4_S4_lNS_14AccumulateTypeIT0_Lb1EE4typeES8_NS0_13TensorArgTypeES9_S9_EUllE_EEvNS0_6detail10TensorInfoIT_T1_EESF_NSC_IKS6_SE_EElS8_S8_SE_T6_.kd
    .uniform_work_group_size: 1
    .uses_dynamic_stack: false
    .vgpr_count:     24
    .vgpr_spill_count: 0
    .wavefront_size: 64
  - .agpr_count:     0
    .args:
      - .offset:         0
        .size:           416
        .value_kind:     by_value
      - .offset:         416
        .size:           416
        .value_kind:     by_value
      - .offset:         832
        .size:           416
        .value_kind:     by_value
      - .offset:         1248
        .size:           8
        .value_kind:     by_value
      - .offset:         1256
        .size:           8
        .value_kind:     by_value
      - .offset:         1264
        .size:           8
        .value_kind:     by_value
      - .offset:         1272
        .size:           8
        .value_kind:     by_value
      - .offset:         1280
        .size:           416
        .value_kind:     by_value
      - .offset:         1696
        .size:           4
        .value_kind:     hidden_block_count_x
      - .offset:         1700
        .size:           4
        .value_kind:     hidden_block_count_y
      - .offset:         1704
        .size:           4
        .value_kind:     hidden_block_count_z
      - .offset:         1708
        .size:           2
        .value_kind:     hidden_group_size_x
      - .offset:         1710
        .size:           2
        .value_kind:     hidden_group_size_y
      - .offset:         1712
        .size:           2
        .value_kind:     hidden_group_size_z
      - .offset:         1714
        .size:           2
        .value_kind:     hidden_remainder_x
      - .offset:         1716
        .size:           2
        .value_kind:     hidden_remainder_y
      - .offset:         1718
        .size:           2
        .value_kind:     hidden_remainder_z
      - .offset:         1736
        .size:           8
        .value_kind:     hidden_global_offset_x
      - .offset:         1744
        .size:           8
        .value_kind:     hidden_global_offset_y
      - .offset:         1752
        .size:           8
        .value_kind:     hidden_global_offset_z
      - .offset:         1760
        .size:           2
        .value_kind:     hidden_grid_dims
    .group_segment_fixed_size: 0
    .kernarg_segment_align: 8
    .kernarg_segment_size: 1952
    .language:       OpenCL C
    .language_version:
      - 2
      - 0
    .max_flat_workgroup_size: 512
    .name:           _ZN2at4cuda17kernelHistogram1DIlalLi1ELi2ELin1ELNS0_23CUDAHistogramMemoryTypeE1EZNS0_21CUDA_tensor_histogramIlaLb0EEEbNS_6TensorES4_S4_lNS_14AccumulateTypeIT0_Lb1EE4typeES8_NS0_13TensorArgTypeES9_S9_EUllE_EEvNS0_6detail10TensorInfoIT_T1_EESF_NSC_IKS6_SE_EElS8_S8_SE_T6_
    .private_segment_fixed_size: 0
    .sgpr_count:     49
    .sgpr_spill_count: 0
    .symbol:         _ZN2at4cuda17kernelHistogram1DIlalLi1ELi2ELin1ELNS0_23CUDAHistogramMemoryTypeE1EZNS0_21CUDA_tensor_histogramIlaLb0EEEbNS_6TensorES4_S4_lNS_14AccumulateTypeIT0_Lb1EE4typeES8_NS0_13TensorArgTypeES9_S9_EUllE_EEvNS0_6detail10TensorInfoIT_T1_EESF_NSC_IKS6_SE_EElS8_S8_SE_T6_.kd
    .uniform_work_group_size: 1
    .uses_dynamic_stack: false
    .vgpr_count:     18
    .vgpr_spill_count: 0
    .wavefront_size: 64
  - .agpr_count:     0
    .args:
      - .offset:         0
        .size:           416
        .value_kind:     by_value
      - .offset:         416
        .size:           416
        .value_kind:     by_value
      - .offset:         832
        .size:           416
        .value_kind:     by_value
      - .offset:         1248
        .size:           8
        .value_kind:     by_value
      - .offset:         1256
        .size:           8
        .value_kind:     by_value
      - .offset:         1264
        .size:           8
        .value_kind:     by_value
      - .offset:         1272
        .size:           8
        .value_kind:     by_value
      - .offset:         1280
        .size:           1
        .value_kind:     by_value
      - .offset:         1288
        .size:           4
        .value_kind:     hidden_block_count_x
      - .offset:         1292
        .size:           4
        .value_kind:     hidden_block_count_y
      - .offset:         1296
        .size:           4
        .value_kind:     hidden_block_count_z
      - .offset:         1300
        .size:           2
        .value_kind:     hidden_group_size_x
      - .offset:         1302
        .size:           2
        .value_kind:     hidden_group_size_y
      - .offset:         1304
        .size:           2
        .value_kind:     hidden_group_size_z
      - .offset:         1306
        .size:           2
        .value_kind:     hidden_remainder_x
      - .offset:         1308
        .size:           2
        .value_kind:     hidden_remainder_y
      - .offset:         1310
        .size:           2
        .value_kind:     hidden_remainder_z
      - .offset:         1328
        .size:           8
        .value_kind:     hidden_global_offset_x
      - .offset:         1336
        .size:           8
        .value_kind:     hidden_global_offset_y
      - .offset:         1344
        .size:           8
        .value_kind:     hidden_global_offset_z
      - .offset:         1352
        .size:           2
        .value_kind:     hidden_grid_dims
      - .offset:         1408
        .size:           4
        .value_kind:     hidden_dynamic_lds_size
    .group_segment_fixed_size: 0
    .kernarg_segment_align: 8
    .kernarg_segment_size: 1544
    .language:       OpenCL C
    .language_version:
      - 2
      - 0
    .max_flat_workgroup_size: 512
    .name:           _ZN2at4cuda17kernelHistogram1DIlalLi1ELi2ELin1ELNS0_23CUDAHistogramMemoryTypeE0EZNS0_21CUDA_tensor_histogramIlaLb0EEEbNS_6TensorES4_S4_lNS_14AccumulateTypeIT0_Lb1EE4typeES8_NS0_13TensorArgTypeES9_S9_EUllE0_EEvNS0_6detail10TensorInfoIT_T1_EESF_NSC_IKS6_SE_EElS8_S8_SE_T6_
    .private_segment_fixed_size: 0
    .sgpr_count:     49
    .sgpr_spill_count: 0
    .symbol:         _ZN2at4cuda17kernelHistogram1DIlalLi1ELi2ELin1ELNS0_23CUDAHistogramMemoryTypeE0EZNS0_21CUDA_tensor_histogramIlaLb0EEEbNS_6TensorES4_S4_lNS_14AccumulateTypeIT0_Lb1EE4typeES8_NS0_13TensorArgTypeES9_S9_EUllE0_EEvNS0_6detail10TensorInfoIT_T1_EESF_NSC_IKS6_SE_EElS8_S8_SE_T6_.kd
    .uniform_work_group_size: 1
    .uses_dynamic_stack: false
    .vgpr_count:     24
    .vgpr_spill_count: 0
    .wavefront_size: 64
  - .agpr_count:     0
    .args:
      - .offset:         0
        .size:           416
        .value_kind:     by_value
      - .offset:         416
        .size:           416
        .value_kind:     by_value
      - .offset:         832
        .size:           416
        .value_kind:     by_value
      - .offset:         1248
        .size:           8
        .value_kind:     by_value
      - .offset:         1256
        .size:           8
        .value_kind:     by_value
      - .offset:         1264
        .size:           8
        .value_kind:     by_value
      - .offset:         1272
        .size:           8
        .value_kind:     by_value
      - .offset:         1280
        .size:           1
        .value_kind:     by_value
      - .offset:         1288
        .size:           4
        .value_kind:     hidden_block_count_x
      - .offset:         1292
        .size:           4
        .value_kind:     hidden_block_count_y
      - .offset:         1296
        .size:           4
        .value_kind:     hidden_block_count_z
      - .offset:         1300
        .size:           2
        .value_kind:     hidden_group_size_x
      - .offset:         1302
        .size:           2
        .value_kind:     hidden_group_size_y
      - .offset:         1304
        .size:           2
        .value_kind:     hidden_group_size_z
      - .offset:         1306
        .size:           2
        .value_kind:     hidden_remainder_x
      - .offset:         1308
        .size:           2
        .value_kind:     hidden_remainder_y
      - .offset:         1310
        .size:           2
        .value_kind:     hidden_remainder_z
      - .offset:         1328
        .size:           8
        .value_kind:     hidden_global_offset_x
      - .offset:         1336
        .size:           8
        .value_kind:     hidden_global_offset_y
      - .offset:         1344
        .size:           8
        .value_kind:     hidden_global_offset_z
      - .offset:         1352
        .size:           2
        .value_kind:     hidden_grid_dims
    .group_segment_fixed_size: 0
    .kernarg_segment_align: 8
    .kernarg_segment_size: 1544
    .language:       OpenCL C
    .language_version:
      - 2
      - 0
    .max_flat_workgroup_size: 512
    .name:           _ZN2at4cuda17kernelHistogram1DIlalLi1ELi2ELin1ELNS0_23CUDAHistogramMemoryTypeE1EZNS0_21CUDA_tensor_histogramIlaLb0EEEbNS_6TensorES4_S4_lNS_14AccumulateTypeIT0_Lb1EE4typeES8_NS0_13TensorArgTypeES9_S9_EUllE0_EEvNS0_6detail10TensorInfoIT_T1_EESF_NSC_IKS6_SE_EElS8_S8_SE_T6_
    .private_segment_fixed_size: 0
    .sgpr_count:     45
    .sgpr_spill_count: 0
    .symbol:         _ZN2at4cuda17kernelHistogram1DIlalLi1ELi2ELin1ELNS0_23CUDAHistogramMemoryTypeE1EZNS0_21CUDA_tensor_histogramIlaLb0EEEbNS_6TensorES4_S4_lNS_14AccumulateTypeIT0_Lb1EE4typeES8_NS0_13TensorArgTypeES9_S9_EUllE0_EEvNS0_6detail10TensorInfoIT_T1_EESF_NSC_IKS6_SE_EElS8_S8_SE_T6_.kd
    .uniform_work_group_size: 1
    .uses_dynamic_stack: false
    .vgpr_count:     18
    .vgpr_spill_count: 0
    .wavefront_size: 64
  - .agpr_count:     0
    .args:
      - .offset:         0
        .size:           416
        .value_kind:     by_value
      - .offset:         416
        .size:           416
        .value_kind:     by_value
      - .offset:         832
        .size:           416
        .value_kind:     by_value
      - .offset:         1248
        .size:           8
        .value_kind:     by_value
      - .offset:         1256
        .size:           8
        .value_kind:     by_value
      - .offset:         1264
        .size:           8
        .value_kind:     by_value
      - .offset:         1272
        .size:           8
        .value_kind:     by_value
      - .offset:         1280
        .size:           416
        .value_kind:     by_value
      - .offset:         1696
        .size:           4
        .value_kind:     hidden_block_count_x
      - .offset:         1700
        .size:           4
        .value_kind:     hidden_block_count_y
      - .offset:         1704
        .size:           4
        .value_kind:     hidden_block_count_z
      - .offset:         1708
        .size:           2
        .value_kind:     hidden_group_size_x
      - .offset:         1710
        .size:           2
        .value_kind:     hidden_group_size_y
      - .offset:         1712
        .size:           2
        .value_kind:     hidden_group_size_z
      - .offset:         1714
        .size:           2
        .value_kind:     hidden_remainder_x
      - .offset:         1716
        .size:           2
        .value_kind:     hidden_remainder_y
      - .offset:         1718
        .size:           2
        .value_kind:     hidden_remainder_z
      - .offset:         1736
        .size:           8
        .value_kind:     hidden_global_offset_x
      - .offset:         1744
        .size:           8
        .value_kind:     hidden_global_offset_y
      - .offset:         1752
        .size:           8
        .value_kind:     hidden_global_offset_z
      - .offset:         1760
        .size:           2
        .value_kind:     hidden_grid_dims
      - .offset:         1816
        .size:           4
        .value_kind:     hidden_dynamic_lds_size
    .group_segment_fixed_size: 0
    .kernarg_segment_align: 8
    .kernarg_segment_size: 1952
    .language:       OpenCL C
    .language_version:
      - 2
      - 0
    .max_flat_workgroup_size: 512
    .name:           _ZN2at4cuda17kernelHistogram1DIdalLi1ELi2ELin1ELNS0_23CUDAHistogramMemoryTypeE0EZNS0_21CUDA_tensor_histogramIdaLb1EEEbNS_6TensorES4_S4_lNS_14AccumulateTypeIT0_Lb1EE4typeES8_NS0_13TensorArgTypeES9_S9_EUllE_EEvNS0_6detail10TensorInfoIT_T1_EESF_NSC_IKS6_SE_EElS8_S8_SE_T6_
    .private_segment_fixed_size: 0
    .sgpr_count:     54
    .sgpr_spill_count: 0
    .symbol:         _ZN2at4cuda17kernelHistogram1DIdalLi1ELi2ELin1ELNS0_23CUDAHistogramMemoryTypeE0EZNS0_21CUDA_tensor_histogramIdaLb1EEEbNS_6TensorES4_S4_lNS_14AccumulateTypeIT0_Lb1EE4typeES8_NS0_13TensorArgTypeES9_S9_EUllE_EEvNS0_6detail10TensorInfoIT_T1_EESF_NSC_IKS6_SE_EElS8_S8_SE_T6_.kd
    .uniform_work_group_size: 1
    .uses_dynamic_stack: false
    .vgpr_count:     24
    .vgpr_spill_count: 0
    .wavefront_size: 64
  - .agpr_count:     0
    .args:
      - .offset:         0
        .size:           416
        .value_kind:     by_value
      - .offset:         416
        .size:           416
        .value_kind:     by_value
      - .offset:         832
        .size:           416
        .value_kind:     by_value
      - .offset:         1248
        .size:           8
        .value_kind:     by_value
      - .offset:         1256
        .size:           8
        .value_kind:     by_value
      - .offset:         1264
        .size:           8
        .value_kind:     by_value
      - .offset:         1272
        .size:           8
        .value_kind:     by_value
      - .offset:         1280
        .size:           416
        .value_kind:     by_value
      - .offset:         1696
        .size:           4
        .value_kind:     hidden_block_count_x
      - .offset:         1700
        .size:           4
        .value_kind:     hidden_block_count_y
      - .offset:         1704
        .size:           4
        .value_kind:     hidden_block_count_z
      - .offset:         1708
        .size:           2
        .value_kind:     hidden_group_size_x
      - .offset:         1710
        .size:           2
        .value_kind:     hidden_group_size_y
      - .offset:         1712
        .size:           2
        .value_kind:     hidden_group_size_z
      - .offset:         1714
        .size:           2
        .value_kind:     hidden_remainder_x
      - .offset:         1716
        .size:           2
        .value_kind:     hidden_remainder_y
      - .offset:         1718
        .size:           2
        .value_kind:     hidden_remainder_z
      - .offset:         1736
        .size:           8
        .value_kind:     hidden_global_offset_x
      - .offset:         1744
        .size:           8
        .value_kind:     hidden_global_offset_y
      - .offset:         1752
        .size:           8
        .value_kind:     hidden_global_offset_z
      - .offset:         1760
        .size:           2
        .value_kind:     hidden_grid_dims
    .group_segment_fixed_size: 0
    .kernarg_segment_align: 8
    .kernarg_segment_size: 1952
    .language:       OpenCL C
    .language_version:
      - 2
      - 0
    .max_flat_workgroup_size: 512
    .name:           _ZN2at4cuda17kernelHistogram1DIdalLi1ELi2ELin1ELNS0_23CUDAHistogramMemoryTypeE1EZNS0_21CUDA_tensor_histogramIdaLb1EEEbNS_6TensorES4_S4_lNS_14AccumulateTypeIT0_Lb1EE4typeES8_NS0_13TensorArgTypeES9_S9_EUllE_EEvNS0_6detail10TensorInfoIT_T1_EESF_NSC_IKS6_SE_EElS8_S8_SE_T6_
    .private_segment_fixed_size: 0
    .sgpr_count:     49
    .sgpr_spill_count: 0
    .symbol:         _ZN2at4cuda17kernelHistogram1DIdalLi1ELi2ELin1ELNS0_23CUDAHistogramMemoryTypeE1EZNS0_21CUDA_tensor_histogramIdaLb1EEEbNS_6TensorES4_S4_lNS_14AccumulateTypeIT0_Lb1EE4typeES8_NS0_13TensorArgTypeES9_S9_EUllE_EEvNS0_6detail10TensorInfoIT_T1_EESF_NSC_IKS6_SE_EElS8_S8_SE_T6_.kd
    .uniform_work_group_size: 1
    .uses_dynamic_stack: false
    .vgpr_count:     18
    .vgpr_spill_count: 0
    .wavefront_size: 64
  - .agpr_count:     0
    .args:
      - .offset:         0
        .size:           416
        .value_kind:     by_value
      - .offset:         416
        .size:           416
        .value_kind:     by_value
      - .offset:         832
        .size:           416
        .value_kind:     by_value
      - .offset:         1248
        .size:           8
        .value_kind:     by_value
      - .offset:         1256
        .size:           8
        .value_kind:     by_value
      - .offset:         1264
        .size:           8
        .value_kind:     by_value
      - .offset:         1272
        .size:           8
        .value_kind:     by_value
      - .offset:         1280
        .size:           1
        .value_kind:     by_value
      - .offset:         1288
        .size:           4
        .value_kind:     hidden_block_count_x
      - .offset:         1292
        .size:           4
        .value_kind:     hidden_block_count_y
      - .offset:         1296
        .size:           4
        .value_kind:     hidden_block_count_z
      - .offset:         1300
        .size:           2
        .value_kind:     hidden_group_size_x
      - .offset:         1302
        .size:           2
        .value_kind:     hidden_group_size_y
      - .offset:         1304
        .size:           2
        .value_kind:     hidden_group_size_z
      - .offset:         1306
        .size:           2
        .value_kind:     hidden_remainder_x
      - .offset:         1308
        .size:           2
        .value_kind:     hidden_remainder_y
      - .offset:         1310
        .size:           2
        .value_kind:     hidden_remainder_z
      - .offset:         1328
        .size:           8
        .value_kind:     hidden_global_offset_x
      - .offset:         1336
        .size:           8
        .value_kind:     hidden_global_offset_y
      - .offset:         1344
        .size:           8
        .value_kind:     hidden_global_offset_z
      - .offset:         1352
        .size:           2
        .value_kind:     hidden_grid_dims
      - .offset:         1408
        .size:           4
        .value_kind:     hidden_dynamic_lds_size
    .group_segment_fixed_size: 0
    .kernarg_segment_align: 8
    .kernarg_segment_size: 1544
    .language:       OpenCL C
    .language_version:
      - 2
      - 0
    .max_flat_workgroup_size: 512
    .name:           _ZN2at4cuda17kernelHistogram1DIdalLi1ELi2ELin1ELNS0_23CUDAHistogramMemoryTypeE0EZNS0_21CUDA_tensor_histogramIdaLb1EEEbNS_6TensorES4_S4_lNS_14AccumulateTypeIT0_Lb1EE4typeES8_NS0_13TensorArgTypeES9_S9_EUllE0_EEvNS0_6detail10TensorInfoIT_T1_EESF_NSC_IKS6_SE_EElS8_S8_SE_T6_
    .private_segment_fixed_size: 0
    .sgpr_count:     50
    .sgpr_spill_count: 0
    .symbol:         _ZN2at4cuda17kernelHistogram1DIdalLi1ELi2ELin1ELNS0_23CUDAHistogramMemoryTypeE0EZNS0_21CUDA_tensor_histogramIdaLb1EEEbNS_6TensorES4_S4_lNS_14AccumulateTypeIT0_Lb1EE4typeES8_NS0_13TensorArgTypeES9_S9_EUllE0_EEvNS0_6detail10TensorInfoIT_T1_EESF_NSC_IKS6_SE_EElS8_S8_SE_T6_.kd
    .uniform_work_group_size: 1
    .uses_dynamic_stack: false
    .vgpr_count:     24
    .vgpr_spill_count: 0
    .wavefront_size: 64
  - .agpr_count:     0
    .args:
      - .offset:         0
        .size:           416
        .value_kind:     by_value
      - .offset:         416
        .size:           416
        .value_kind:     by_value
      - .offset:         832
        .size:           416
        .value_kind:     by_value
      - .offset:         1248
        .size:           8
        .value_kind:     by_value
      - .offset:         1256
        .size:           8
        .value_kind:     by_value
      - .offset:         1264
        .size:           8
        .value_kind:     by_value
      - .offset:         1272
        .size:           8
        .value_kind:     by_value
      - .offset:         1280
        .size:           1
        .value_kind:     by_value
      - .offset:         1288
        .size:           4
        .value_kind:     hidden_block_count_x
      - .offset:         1292
        .size:           4
        .value_kind:     hidden_block_count_y
      - .offset:         1296
        .size:           4
        .value_kind:     hidden_block_count_z
      - .offset:         1300
        .size:           2
        .value_kind:     hidden_group_size_x
      - .offset:         1302
        .size:           2
        .value_kind:     hidden_group_size_y
      - .offset:         1304
        .size:           2
        .value_kind:     hidden_group_size_z
      - .offset:         1306
        .size:           2
        .value_kind:     hidden_remainder_x
      - .offset:         1308
        .size:           2
        .value_kind:     hidden_remainder_y
      - .offset:         1310
        .size:           2
        .value_kind:     hidden_remainder_z
      - .offset:         1328
        .size:           8
        .value_kind:     hidden_global_offset_x
      - .offset:         1336
        .size:           8
        .value_kind:     hidden_global_offset_y
      - .offset:         1344
        .size:           8
        .value_kind:     hidden_global_offset_z
      - .offset:         1352
        .size:           2
        .value_kind:     hidden_grid_dims
    .group_segment_fixed_size: 0
    .kernarg_segment_align: 8
    .kernarg_segment_size: 1544
    .language:       OpenCL C
    .language_version:
      - 2
      - 0
    .max_flat_workgroup_size: 512
    .name:           _ZN2at4cuda17kernelHistogram1DIdalLi1ELi2ELin1ELNS0_23CUDAHistogramMemoryTypeE1EZNS0_21CUDA_tensor_histogramIdaLb1EEEbNS_6TensorES4_S4_lNS_14AccumulateTypeIT0_Lb1EE4typeES8_NS0_13TensorArgTypeES9_S9_EUllE0_EEvNS0_6detail10TensorInfoIT_T1_EESF_NSC_IKS6_SE_EElS8_S8_SE_T6_
    .private_segment_fixed_size: 0
    .sgpr_count:     45
    .sgpr_spill_count: 0
    .symbol:         _ZN2at4cuda17kernelHistogram1DIdalLi1ELi2ELin1ELNS0_23CUDAHistogramMemoryTypeE1EZNS0_21CUDA_tensor_histogramIdaLb1EEEbNS_6TensorES4_S4_lNS_14AccumulateTypeIT0_Lb1EE4typeES8_NS0_13TensorArgTypeES9_S9_EUllE0_EEvNS0_6detail10TensorInfoIT_T1_EESF_NSC_IKS6_SE_EElS8_S8_SE_T6_.kd
    .uniform_work_group_size: 1
    .uses_dynamic_stack: false
    .vgpr_count:     18
    .vgpr_spill_count: 0
    .wavefront_size: 64
  - .agpr_count:     0
    .args:
      - .offset:         0
        .size:           416
        .value_kind:     by_value
      - .offset:         416
        .size:           416
        .value_kind:     by_value
      - .offset:         832
        .size:           416
        .value_kind:     by_value
      - .offset:         1248
        .size:           8
        .value_kind:     by_value
      - .offset:         1256
        .size:           8
        .value_kind:     by_value
      - .offset:         1264
        .size:           8
        .value_kind:     by_value
      - .offset:         1272
        .size:           8
        .value_kind:     by_value
      - .offset:         1280
        .size:           416
        .value_kind:     by_value
      - .offset:         1696
        .size:           4
        .value_kind:     hidden_block_count_x
      - .offset:         1700
        .size:           4
        .value_kind:     hidden_block_count_y
      - .offset:         1704
        .size:           4
        .value_kind:     hidden_block_count_z
      - .offset:         1708
        .size:           2
        .value_kind:     hidden_group_size_x
      - .offset:         1710
        .size:           2
        .value_kind:     hidden_group_size_y
      - .offset:         1712
        .size:           2
        .value_kind:     hidden_group_size_z
      - .offset:         1714
        .size:           2
        .value_kind:     hidden_remainder_x
      - .offset:         1716
        .size:           2
        .value_kind:     hidden_remainder_y
      - .offset:         1718
        .size:           2
        .value_kind:     hidden_remainder_z
      - .offset:         1736
        .size:           8
        .value_kind:     hidden_global_offset_x
      - .offset:         1744
        .size:           8
        .value_kind:     hidden_global_offset_y
      - .offset:         1752
        .size:           8
        .value_kind:     hidden_global_offset_z
      - .offset:         1760
        .size:           2
        .value_kind:     hidden_grid_dims
      - .offset:         1816
        .size:           4
        .value_kind:     hidden_dynamic_lds_size
    .group_segment_fixed_size: 0
    .kernarg_segment_align: 8
    .kernarg_segment_size: 1952
    .language:       OpenCL C
    .language_version:
      - 2
      - 0
    .max_flat_workgroup_size: 512
    .name:           _ZN2at4cuda17kernelHistogram1DIfilLi1ELi2ELin1ELNS0_23CUDAHistogramMemoryTypeE0EZNS0_21CUDA_tensor_histogramIfiLb1EEEbNS_6TensorES4_S4_lNS_14AccumulateTypeIT0_Lb1EE4typeES8_NS0_13TensorArgTypeES9_S9_EUllE_EEvNS0_6detail10TensorInfoIT_T1_EESF_NSC_IKS6_SE_EElS8_S8_SE_T6_
    .private_segment_fixed_size: 0
    .sgpr_count:     53
    .sgpr_spill_count: 0
    .symbol:         _ZN2at4cuda17kernelHistogram1DIfilLi1ELi2ELin1ELNS0_23CUDAHistogramMemoryTypeE0EZNS0_21CUDA_tensor_histogramIfiLb1EEEbNS_6TensorES4_S4_lNS_14AccumulateTypeIT0_Lb1EE4typeES8_NS0_13TensorArgTypeES9_S9_EUllE_EEvNS0_6detail10TensorInfoIT_T1_EESF_NSC_IKS6_SE_EElS8_S8_SE_T6_.kd
    .uniform_work_group_size: 1
    .uses_dynamic_stack: false
    .vgpr_count:     22
    .vgpr_spill_count: 0
    .wavefront_size: 64
  - .agpr_count:     0
    .args:
      - .offset:         0
        .size:           416
        .value_kind:     by_value
      - .offset:         416
        .size:           416
        .value_kind:     by_value
      - .offset:         832
        .size:           416
        .value_kind:     by_value
      - .offset:         1248
        .size:           8
        .value_kind:     by_value
      - .offset:         1256
        .size:           8
        .value_kind:     by_value
      - .offset:         1264
        .size:           8
        .value_kind:     by_value
      - .offset:         1272
        .size:           8
        .value_kind:     by_value
      - .offset:         1280
        .size:           416
        .value_kind:     by_value
      - .offset:         1696
        .size:           4
        .value_kind:     hidden_block_count_x
      - .offset:         1700
        .size:           4
        .value_kind:     hidden_block_count_y
      - .offset:         1704
        .size:           4
        .value_kind:     hidden_block_count_z
      - .offset:         1708
        .size:           2
        .value_kind:     hidden_group_size_x
      - .offset:         1710
        .size:           2
        .value_kind:     hidden_group_size_y
      - .offset:         1712
        .size:           2
        .value_kind:     hidden_group_size_z
      - .offset:         1714
        .size:           2
        .value_kind:     hidden_remainder_x
      - .offset:         1716
        .size:           2
        .value_kind:     hidden_remainder_y
      - .offset:         1718
        .size:           2
        .value_kind:     hidden_remainder_z
      - .offset:         1736
        .size:           8
        .value_kind:     hidden_global_offset_x
      - .offset:         1744
        .size:           8
        .value_kind:     hidden_global_offset_y
      - .offset:         1752
        .size:           8
        .value_kind:     hidden_global_offset_z
      - .offset:         1760
        .size:           2
        .value_kind:     hidden_grid_dims
    .group_segment_fixed_size: 0
    .kernarg_segment_align: 8
    .kernarg_segment_size: 1952
    .language:       OpenCL C
    .language_version:
      - 2
      - 0
    .max_flat_workgroup_size: 512
    .name:           _ZN2at4cuda17kernelHistogram1DIfilLi1ELi2ELin1ELNS0_23CUDAHistogramMemoryTypeE1EZNS0_21CUDA_tensor_histogramIfiLb1EEEbNS_6TensorES4_S4_lNS_14AccumulateTypeIT0_Lb1EE4typeES8_NS0_13TensorArgTypeES9_S9_EUllE_EEvNS0_6detail10TensorInfoIT_T1_EESF_NSC_IKS6_SE_EElS8_S8_SE_T6_
    .private_segment_fixed_size: 0
    .sgpr_count:     49
    .sgpr_spill_count: 0
    .symbol:         _ZN2at4cuda17kernelHistogram1DIfilLi1ELi2ELin1ELNS0_23CUDAHistogramMemoryTypeE1EZNS0_21CUDA_tensor_histogramIfiLb1EEEbNS_6TensorES4_S4_lNS_14AccumulateTypeIT0_Lb1EE4typeES8_NS0_13TensorArgTypeES9_S9_EUllE_EEvNS0_6detail10TensorInfoIT_T1_EESF_NSC_IKS6_SE_EElS8_S8_SE_T6_.kd
    .uniform_work_group_size: 1
    .uses_dynamic_stack: false
    .vgpr_count:     18
    .vgpr_spill_count: 0
    .wavefront_size: 64
  - .agpr_count:     0
    .args:
      - .offset:         0
        .size:           416
        .value_kind:     by_value
      - .offset:         416
        .size:           416
        .value_kind:     by_value
      - .offset:         832
        .size:           416
        .value_kind:     by_value
      - .offset:         1248
        .size:           8
        .value_kind:     by_value
      - .offset:         1256
        .size:           8
        .value_kind:     by_value
      - .offset:         1264
        .size:           8
        .value_kind:     by_value
      - .offset:         1272
        .size:           8
        .value_kind:     by_value
      - .offset:         1280
        .size:           1
        .value_kind:     by_value
      - .offset:         1288
        .size:           4
        .value_kind:     hidden_block_count_x
      - .offset:         1292
        .size:           4
        .value_kind:     hidden_block_count_y
      - .offset:         1296
        .size:           4
        .value_kind:     hidden_block_count_z
      - .offset:         1300
        .size:           2
        .value_kind:     hidden_group_size_x
      - .offset:         1302
        .size:           2
        .value_kind:     hidden_group_size_y
      - .offset:         1304
        .size:           2
        .value_kind:     hidden_group_size_z
      - .offset:         1306
        .size:           2
        .value_kind:     hidden_remainder_x
      - .offset:         1308
        .size:           2
        .value_kind:     hidden_remainder_y
      - .offset:         1310
        .size:           2
        .value_kind:     hidden_remainder_z
      - .offset:         1328
        .size:           8
        .value_kind:     hidden_global_offset_x
      - .offset:         1336
        .size:           8
        .value_kind:     hidden_global_offset_y
      - .offset:         1344
        .size:           8
        .value_kind:     hidden_global_offset_z
      - .offset:         1352
        .size:           2
        .value_kind:     hidden_grid_dims
      - .offset:         1408
        .size:           4
        .value_kind:     hidden_dynamic_lds_size
    .group_segment_fixed_size: 0
    .kernarg_segment_align: 8
    .kernarg_segment_size: 1544
    .language:       OpenCL C
    .language_version:
      - 2
      - 0
    .max_flat_workgroup_size: 512
    .name:           _ZN2at4cuda17kernelHistogram1DIfilLi1ELi2ELin1ELNS0_23CUDAHistogramMemoryTypeE0EZNS0_21CUDA_tensor_histogramIfiLb1EEEbNS_6TensorES4_S4_lNS_14AccumulateTypeIT0_Lb1EE4typeES8_NS0_13TensorArgTypeES9_S9_EUllE0_EEvNS0_6detail10TensorInfoIT_T1_EESF_NSC_IKS6_SE_EElS8_S8_SE_T6_
    .private_segment_fixed_size: 0
    .sgpr_count:     49
    .sgpr_spill_count: 0
    .symbol:         _ZN2at4cuda17kernelHistogram1DIfilLi1ELi2ELin1ELNS0_23CUDAHistogramMemoryTypeE0EZNS0_21CUDA_tensor_histogramIfiLb1EEEbNS_6TensorES4_S4_lNS_14AccumulateTypeIT0_Lb1EE4typeES8_NS0_13TensorArgTypeES9_S9_EUllE0_EEvNS0_6detail10TensorInfoIT_T1_EESF_NSC_IKS6_SE_EElS8_S8_SE_T6_.kd
    .uniform_work_group_size: 1
    .uses_dynamic_stack: false
    .vgpr_count:     23
    .vgpr_spill_count: 0
    .wavefront_size: 64
  - .agpr_count:     0
    .args:
      - .offset:         0
        .size:           416
        .value_kind:     by_value
      - .offset:         416
        .size:           416
        .value_kind:     by_value
      - .offset:         832
        .size:           416
        .value_kind:     by_value
      - .offset:         1248
        .size:           8
        .value_kind:     by_value
      - .offset:         1256
        .size:           8
        .value_kind:     by_value
      - .offset:         1264
        .size:           8
        .value_kind:     by_value
      - .offset:         1272
        .size:           8
        .value_kind:     by_value
      - .offset:         1280
        .size:           1
        .value_kind:     by_value
      - .offset:         1288
        .size:           4
        .value_kind:     hidden_block_count_x
      - .offset:         1292
        .size:           4
        .value_kind:     hidden_block_count_y
      - .offset:         1296
        .size:           4
        .value_kind:     hidden_block_count_z
      - .offset:         1300
        .size:           2
        .value_kind:     hidden_group_size_x
      - .offset:         1302
        .size:           2
        .value_kind:     hidden_group_size_y
      - .offset:         1304
        .size:           2
        .value_kind:     hidden_group_size_z
      - .offset:         1306
        .size:           2
        .value_kind:     hidden_remainder_x
      - .offset:         1308
        .size:           2
        .value_kind:     hidden_remainder_y
      - .offset:         1310
        .size:           2
        .value_kind:     hidden_remainder_z
      - .offset:         1328
        .size:           8
        .value_kind:     hidden_global_offset_x
      - .offset:         1336
        .size:           8
        .value_kind:     hidden_global_offset_y
      - .offset:         1344
        .size:           8
        .value_kind:     hidden_global_offset_z
      - .offset:         1352
        .size:           2
        .value_kind:     hidden_grid_dims
    .group_segment_fixed_size: 0
    .kernarg_segment_align: 8
    .kernarg_segment_size: 1544
    .language:       OpenCL C
    .language_version:
      - 2
      - 0
    .max_flat_workgroup_size: 512
    .name:           _ZN2at4cuda17kernelHistogram1DIfilLi1ELi2ELin1ELNS0_23CUDAHistogramMemoryTypeE1EZNS0_21CUDA_tensor_histogramIfiLb1EEEbNS_6TensorES4_S4_lNS_14AccumulateTypeIT0_Lb1EE4typeES8_NS0_13TensorArgTypeES9_S9_EUllE0_EEvNS0_6detail10TensorInfoIT_T1_EESF_NSC_IKS6_SE_EElS8_S8_SE_T6_
    .private_segment_fixed_size: 0
    .sgpr_count:     45
    .sgpr_spill_count: 0
    .symbol:         _ZN2at4cuda17kernelHistogram1DIfilLi1ELi2ELin1ELNS0_23CUDAHistogramMemoryTypeE1EZNS0_21CUDA_tensor_histogramIfiLb1EEEbNS_6TensorES4_S4_lNS_14AccumulateTypeIT0_Lb1EE4typeES8_NS0_13TensorArgTypeES9_S9_EUllE0_EEvNS0_6detail10TensorInfoIT_T1_EESF_NSC_IKS6_SE_EElS8_S8_SE_T6_.kd
    .uniform_work_group_size: 1
    .uses_dynamic_stack: false
    .vgpr_count:     19
    .vgpr_spill_count: 0
    .wavefront_size: 64
  - .agpr_count:     0
    .args:
      - .offset:         0
        .size:           416
        .value_kind:     by_value
      - .offset:         416
        .size:           416
        .value_kind:     by_value
      - .offset:         832
        .size:           416
        .value_kind:     by_value
      - .offset:         1248
        .size:           8
        .value_kind:     by_value
      - .offset:         1256
        .size:           8
        .value_kind:     by_value
      - .offset:         1264
        .size:           8
        .value_kind:     by_value
      - .offset:         1272
        .size:           8
        .value_kind:     by_value
      - .offset:         1280
        .size:           416
        .value_kind:     by_value
      - .offset:         1696
        .size:           4
        .value_kind:     hidden_block_count_x
      - .offset:         1700
        .size:           4
        .value_kind:     hidden_block_count_y
      - .offset:         1704
        .size:           4
        .value_kind:     hidden_block_count_z
      - .offset:         1708
        .size:           2
        .value_kind:     hidden_group_size_x
      - .offset:         1710
        .size:           2
        .value_kind:     hidden_group_size_y
      - .offset:         1712
        .size:           2
        .value_kind:     hidden_group_size_z
      - .offset:         1714
        .size:           2
        .value_kind:     hidden_remainder_x
      - .offset:         1716
        .size:           2
        .value_kind:     hidden_remainder_y
      - .offset:         1718
        .size:           2
        .value_kind:     hidden_remainder_z
      - .offset:         1736
        .size:           8
        .value_kind:     hidden_global_offset_x
      - .offset:         1744
        .size:           8
        .value_kind:     hidden_global_offset_y
      - .offset:         1752
        .size:           8
        .value_kind:     hidden_global_offset_z
      - .offset:         1760
        .size:           2
        .value_kind:     hidden_grid_dims
      - .offset:         1816
        .size:           4
        .value_kind:     hidden_dynamic_lds_size
    .group_segment_fixed_size: 0
    .kernarg_segment_align: 8
    .kernarg_segment_size: 1952
    .language:       OpenCL C
    .language_version:
      - 2
      - 0
    .max_flat_workgroup_size: 512
    .name:           _ZN2at4cuda17kernelHistogram1DIlilLi1ELi2ELin1ELNS0_23CUDAHistogramMemoryTypeE0EZNS0_21CUDA_tensor_histogramIliLb0EEEbNS_6TensorES4_S4_lNS_14AccumulateTypeIT0_Lb1EE4typeES8_NS0_13TensorArgTypeES9_S9_EUllE_EEvNS0_6detail10TensorInfoIT_T1_EESF_NSC_IKS6_SE_EElS8_S8_SE_T6_
    .private_segment_fixed_size: 0
    .sgpr_count:     53
    .sgpr_spill_count: 0
    .symbol:         _ZN2at4cuda17kernelHistogram1DIlilLi1ELi2ELin1ELNS0_23CUDAHistogramMemoryTypeE0EZNS0_21CUDA_tensor_histogramIliLb0EEEbNS_6TensorES4_S4_lNS_14AccumulateTypeIT0_Lb1EE4typeES8_NS0_13TensorArgTypeES9_S9_EUllE_EEvNS0_6detail10TensorInfoIT_T1_EESF_NSC_IKS6_SE_EElS8_S8_SE_T6_.kd
    .uniform_work_group_size: 1
    .uses_dynamic_stack: false
    .vgpr_count:     24
    .vgpr_spill_count: 0
    .wavefront_size: 64
  - .agpr_count:     0
    .args:
      - .offset:         0
        .size:           416
        .value_kind:     by_value
      - .offset:         416
        .size:           416
        .value_kind:     by_value
      - .offset:         832
        .size:           416
        .value_kind:     by_value
      - .offset:         1248
        .size:           8
        .value_kind:     by_value
      - .offset:         1256
        .size:           8
        .value_kind:     by_value
      - .offset:         1264
        .size:           8
        .value_kind:     by_value
      - .offset:         1272
        .size:           8
        .value_kind:     by_value
      - .offset:         1280
        .size:           416
        .value_kind:     by_value
      - .offset:         1696
        .size:           4
        .value_kind:     hidden_block_count_x
      - .offset:         1700
        .size:           4
        .value_kind:     hidden_block_count_y
      - .offset:         1704
        .size:           4
        .value_kind:     hidden_block_count_z
      - .offset:         1708
        .size:           2
        .value_kind:     hidden_group_size_x
      - .offset:         1710
        .size:           2
        .value_kind:     hidden_group_size_y
      - .offset:         1712
        .size:           2
        .value_kind:     hidden_group_size_z
      - .offset:         1714
        .size:           2
        .value_kind:     hidden_remainder_x
      - .offset:         1716
        .size:           2
        .value_kind:     hidden_remainder_y
      - .offset:         1718
        .size:           2
        .value_kind:     hidden_remainder_z
      - .offset:         1736
        .size:           8
        .value_kind:     hidden_global_offset_x
      - .offset:         1744
        .size:           8
        .value_kind:     hidden_global_offset_y
      - .offset:         1752
        .size:           8
        .value_kind:     hidden_global_offset_z
      - .offset:         1760
        .size:           2
        .value_kind:     hidden_grid_dims
    .group_segment_fixed_size: 0
    .kernarg_segment_align: 8
    .kernarg_segment_size: 1952
    .language:       OpenCL C
    .language_version:
      - 2
      - 0
    .max_flat_workgroup_size: 512
    .name:           _ZN2at4cuda17kernelHistogram1DIlilLi1ELi2ELin1ELNS0_23CUDAHistogramMemoryTypeE1EZNS0_21CUDA_tensor_histogramIliLb0EEEbNS_6TensorES4_S4_lNS_14AccumulateTypeIT0_Lb1EE4typeES8_NS0_13TensorArgTypeES9_S9_EUllE_EEvNS0_6detail10TensorInfoIT_T1_EESF_NSC_IKS6_SE_EElS8_S8_SE_T6_
    .private_segment_fixed_size: 0
    .sgpr_count:     49
    .sgpr_spill_count: 0
    .symbol:         _ZN2at4cuda17kernelHistogram1DIlilLi1ELi2ELin1ELNS0_23CUDAHistogramMemoryTypeE1EZNS0_21CUDA_tensor_histogramIliLb0EEEbNS_6TensorES4_S4_lNS_14AccumulateTypeIT0_Lb1EE4typeES8_NS0_13TensorArgTypeES9_S9_EUllE_EEvNS0_6detail10TensorInfoIT_T1_EESF_NSC_IKS6_SE_EElS8_S8_SE_T6_.kd
    .uniform_work_group_size: 1
    .uses_dynamic_stack: false
    .vgpr_count:     18
    .vgpr_spill_count: 0
    .wavefront_size: 64
  - .agpr_count:     0
    .args:
      - .offset:         0
        .size:           416
        .value_kind:     by_value
      - .offset:         416
        .size:           416
        .value_kind:     by_value
      - .offset:         832
        .size:           416
        .value_kind:     by_value
      - .offset:         1248
        .size:           8
        .value_kind:     by_value
      - .offset:         1256
        .size:           8
        .value_kind:     by_value
      - .offset:         1264
        .size:           8
        .value_kind:     by_value
      - .offset:         1272
        .size:           8
        .value_kind:     by_value
      - .offset:         1280
        .size:           1
        .value_kind:     by_value
      - .offset:         1288
        .size:           4
        .value_kind:     hidden_block_count_x
      - .offset:         1292
        .size:           4
        .value_kind:     hidden_block_count_y
      - .offset:         1296
        .size:           4
        .value_kind:     hidden_block_count_z
      - .offset:         1300
        .size:           2
        .value_kind:     hidden_group_size_x
      - .offset:         1302
        .size:           2
        .value_kind:     hidden_group_size_y
      - .offset:         1304
        .size:           2
        .value_kind:     hidden_group_size_z
      - .offset:         1306
        .size:           2
        .value_kind:     hidden_remainder_x
      - .offset:         1308
        .size:           2
        .value_kind:     hidden_remainder_y
      - .offset:         1310
        .size:           2
        .value_kind:     hidden_remainder_z
      - .offset:         1328
        .size:           8
        .value_kind:     hidden_global_offset_x
      - .offset:         1336
        .size:           8
        .value_kind:     hidden_global_offset_y
      - .offset:         1344
        .size:           8
        .value_kind:     hidden_global_offset_z
      - .offset:         1352
        .size:           2
        .value_kind:     hidden_grid_dims
      - .offset:         1408
        .size:           4
        .value_kind:     hidden_dynamic_lds_size
    .group_segment_fixed_size: 0
    .kernarg_segment_align: 8
    .kernarg_segment_size: 1544
    .language:       OpenCL C
    .language_version:
      - 2
      - 0
    .max_flat_workgroup_size: 512
    .name:           _ZN2at4cuda17kernelHistogram1DIlilLi1ELi2ELin1ELNS0_23CUDAHistogramMemoryTypeE0EZNS0_21CUDA_tensor_histogramIliLb0EEEbNS_6TensorES4_S4_lNS_14AccumulateTypeIT0_Lb1EE4typeES8_NS0_13TensorArgTypeES9_S9_EUllE0_EEvNS0_6detail10TensorInfoIT_T1_EESF_NSC_IKS6_SE_EElS8_S8_SE_T6_
    .private_segment_fixed_size: 0
    .sgpr_count:     49
    .sgpr_spill_count: 0
    .symbol:         _ZN2at4cuda17kernelHistogram1DIlilLi1ELi2ELin1ELNS0_23CUDAHistogramMemoryTypeE0EZNS0_21CUDA_tensor_histogramIliLb0EEEbNS_6TensorES4_S4_lNS_14AccumulateTypeIT0_Lb1EE4typeES8_NS0_13TensorArgTypeES9_S9_EUllE0_EEvNS0_6detail10TensorInfoIT_T1_EESF_NSC_IKS6_SE_EElS8_S8_SE_T6_.kd
    .uniform_work_group_size: 1
    .uses_dynamic_stack: false
    .vgpr_count:     24
    .vgpr_spill_count: 0
    .wavefront_size: 64
  - .agpr_count:     0
    .args:
      - .offset:         0
        .size:           416
        .value_kind:     by_value
      - .offset:         416
        .size:           416
        .value_kind:     by_value
      - .offset:         832
        .size:           416
        .value_kind:     by_value
      - .offset:         1248
        .size:           8
        .value_kind:     by_value
      - .offset:         1256
        .size:           8
        .value_kind:     by_value
      - .offset:         1264
        .size:           8
        .value_kind:     by_value
      - .offset:         1272
        .size:           8
        .value_kind:     by_value
      - .offset:         1280
        .size:           1
        .value_kind:     by_value
      - .offset:         1288
        .size:           4
        .value_kind:     hidden_block_count_x
      - .offset:         1292
        .size:           4
        .value_kind:     hidden_block_count_y
      - .offset:         1296
        .size:           4
        .value_kind:     hidden_block_count_z
      - .offset:         1300
        .size:           2
        .value_kind:     hidden_group_size_x
      - .offset:         1302
        .size:           2
        .value_kind:     hidden_group_size_y
      - .offset:         1304
        .size:           2
        .value_kind:     hidden_group_size_z
      - .offset:         1306
        .size:           2
        .value_kind:     hidden_remainder_x
      - .offset:         1308
        .size:           2
        .value_kind:     hidden_remainder_y
      - .offset:         1310
        .size:           2
        .value_kind:     hidden_remainder_z
      - .offset:         1328
        .size:           8
        .value_kind:     hidden_global_offset_x
      - .offset:         1336
        .size:           8
        .value_kind:     hidden_global_offset_y
      - .offset:         1344
        .size:           8
        .value_kind:     hidden_global_offset_z
      - .offset:         1352
        .size:           2
        .value_kind:     hidden_grid_dims
    .group_segment_fixed_size: 0
    .kernarg_segment_align: 8
    .kernarg_segment_size: 1544
    .language:       OpenCL C
    .language_version:
      - 2
      - 0
    .max_flat_workgroup_size: 512
    .name:           _ZN2at4cuda17kernelHistogram1DIlilLi1ELi2ELin1ELNS0_23CUDAHistogramMemoryTypeE1EZNS0_21CUDA_tensor_histogramIliLb0EEEbNS_6TensorES4_S4_lNS_14AccumulateTypeIT0_Lb1EE4typeES8_NS0_13TensorArgTypeES9_S9_EUllE0_EEvNS0_6detail10TensorInfoIT_T1_EESF_NSC_IKS6_SE_EElS8_S8_SE_T6_
    .private_segment_fixed_size: 0
    .sgpr_count:     45
    .sgpr_spill_count: 0
    .symbol:         _ZN2at4cuda17kernelHistogram1DIlilLi1ELi2ELin1ELNS0_23CUDAHistogramMemoryTypeE1EZNS0_21CUDA_tensor_histogramIliLb0EEEbNS_6TensorES4_S4_lNS_14AccumulateTypeIT0_Lb1EE4typeES8_NS0_13TensorArgTypeES9_S9_EUllE0_EEvNS0_6detail10TensorInfoIT_T1_EESF_NSC_IKS6_SE_EElS8_S8_SE_T6_.kd
    .uniform_work_group_size: 1
    .uses_dynamic_stack: false
    .vgpr_count:     18
    .vgpr_spill_count: 0
    .wavefront_size: 64
  - .agpr_count:     0
    .args:
      - .offset:         0
        .size:           416
        .value_kind:     by_value
      - .offset:         416
        .size:           416
        .value_kind:     by_value
      - .offset:         832
        .size:           416
        .value_kind:     by_value
      - .offset:         1248
        .size:           8
        .value_kind:     by_value
      - .offset:         1256
        .size:           8
        .value_kind:     by_value
      - .offset:         1264
        .size:           8
        .value_kind:     by_value
      - .offset:         1272
        .size:           8
        .value_kind:     by_value
      - .offset:         1280
        .size:           416
        .value_kind:     by_value
      - .offset:         1696
        .size:           4
        .value_kind:     hidden_block_count_x
      - .offset:         1700
        .size:           4
        .value_kind:     hidden_block_count_y
      - .offset:         1704
        .size:           4
        .value_kind:     hidden_block_count_z
      - .offset:         1708
        .size:           2
        .value_kind:     hidden_group_size_x
      - .offset:         1710
        .size:           2
        .value_kind:     hidden_group_size_y
      - .offset:         1712
        .size:           2
        .value_kind:     hidden_group_size_z
      - .offset:         1714
        .size:           2
        .value_kind:     hidden_remainder_x
      - .offset:         1716
        .size:           2
        .value_kind:     hidden_remainder_y
      - .offset:         1718
        .size:           2
        .value_kind:     hidden_remainder_z
      - .offset:         1736
        .size:           8
        .value_kind:     hidden_global_offset_x
      - .offset:         1744
        .size:           8
        .value_kind:     hidden_global_offset_y
      - .offset:         1752
        .size:           8
        .value_kind:     hidden_global_offset_z
      - .offset:         1760
        .size:           2
        .value_kind:     hidden_grid_dims
      - .offset:         1816
        .size:           4
        .value_kind:     hidden_dynamic_lds_size
    .group_segment_fixed_size: 0
    .kernarg_segment_align: 8
    .kernarg_segment_size: 1952
    .language:       OpenCL C
    .language_version:
      - 2
      - 0
    .max_flat_workgroup_size: 512
    .name:           _ZN2at4cuda17kernelHistogram1DIdilLi1ELi2ELin1ELNS0_23CUDAHistogramMemoryTypeE0EZNS0_21CUDA_tensor_histogramIdiLb1EEEbNS_6TensorES4_S4_lNS_14AccumulateTypeIT0_Lb1EE4typeES8_NS0_13TensorArgTypeES9_S9_EUllE_EEvNS0_6detail10TensorInfoIT_T1_EESF_NSC_IKS6_SE_EElS8_S8_SE_T6_
    .private_segment_fixed_size: 0
    .sgpr_count:     54
    .sgpr_spill_count: 0
    .symbol:         _ZN2at4cuda17kernelHistogram1DIdilLi1ELi2ELin1ELNS0_23CUDAHistogramMemoryTypeE0EZNS0_21CUDA_tensor_histogramIdiLb1EEEbNS_6TensorES4_S4_lNS_14AccumulateTypeIT0_Lb1EE4typeES8_NS0_13TensorArgTypeES9_S9_EUllE_EEvNS0_6detail10TensorInfoIT_T1_EESF_NSC_IKS6_SE_EElS8_S8_SE_T6_.kd
    .uniform_work_group_size: 1
    .uses_dynamic_stack: false
    .vgpr_count:     24
    .vgpr_spill_count: 0
    .wavefront_size: 64
  - .agpr_count:     0
    .args:
      - .offset:         0
        .size:           416
        .value_kind:     by_value
      - .offset:         416
        .size:           416
        .value_kind:     by_value
      - .offset:         832
        .size:           416
        .value_kind:     by_value
      - .offset:         1248
        .size:           8
        .value_kind:     by_value
      - .offset:         1256
        .size:           8
        .value_kind:     by_value
      - .offset:         1264
        .size:           8
        .value_kind:     by_value
      - .offset:         1272
        .size:           8
        .value_kind:     by_value
      - .offset:         1280
        .size:           416
        .value_kind:     by_value
      - .offset:         1696
        .size:           4
        .value_kind:     hidden_block_count_x
      - .offset:         1700
        .size:           4
        .value_kind:     hidden_block_count_y
      - .offset:         1704
        .size:           4
        .value_kind:     hidden_block_count_z
      - .offset:         1708
        .size:           2
        .value_kind:     hidden_group_size_x
      - .offset:         1710
        .size:           2
        .value_kind:     hidden_group_size_y
      - .offset:         1712
        .size:           2
        .value_kind:     hidden_group_size_z
      - .offset:         1714
        .size:           2
        .value_kind:     hidden_remainder_x
      - .offset:         1716
        .size:           2
        .value_kind:     hidden_remainder_y
      - .offset:         1718
        .size:           2
        .value_kind:     hidden_remainder_z
      - .offset:         1736
        .size:           8
        .value_kind:     hidden_global_offset_x
      - .offset:         1744
        .size:           8
        .value_kind:     hidden_global_offset_y
      - .offset:         1752
        .size:           8
        .value_kind:     hidden_global_offset_z
      - .offset:         1760
        .size:           2
        .value_kind:     hidden_grid_dims
    .group_segment_fixed_size: 0
    .kernarg_segment_align: 8
    .kernarg_segment_size: 1952
    .language:       OpenCL C
    .language_version:
      - 2
      - 0
    .max_flat_workgroup_size: 512
    .name:           _ZN2at4cuda17kernelHistogram1DIdilLi1ELi2ELin1ELNS0_23CUDAHistogramMemoryTypeE1EZNS0_21CUDA_tensor_histogramIdiLb1EEEbNS_6TensorES4_S4_lNS_14AccumulateTypeIT0_Lb1EE4typeES8_NS0_13TensorArgTypeES9_S9_EUllE_EEvNS0_6detail10TensorInfoIT_T1_EESF_NSC_IKS6_SE_EElS8_S8_SE_T6_
    .private_segment_fixed_size: 0
    .sgpr_count:     49
    .sgpr_spill_count: 0
    .symbol:         _ZN2at4cuda17kernelHistogram1DIdilLi1ELi2ELin1ELNS0_23CUDAHistogramMemoryTypeE1EZNS0_21CUDA_tensor_histogramIdiLb1EEEbNS_6TensorES4_S4_lNS_14AccumulateTypeIT0_Lb1EE4typeES8_NS0_13TensorArgTypeES9_S9_EUllE_EEvNS0_6detail10TensorInfoIT_T1_EESF_NSC_IKS6_SE_EElS8_S8_SE_T6_.kd
    .uniform_work_group_size: 1
    .uses_dynamic_stack: false
    .vgpr_count:     18
    .vgpr_spill_count: 0
    .wavefront_size: 64
  - .agpr_count:     0
    .args:
      - .offset:         0
        .size:           416
        .value_kind:     by_value
      - .offset:         416
        .size:           416
        .value_kind:     by_value
      - .offset:         832
        .size:           416
        .value_kind:     by_value
      - .offset:         1248
        .size:           8
        .value_kind:     by_value
      - .offset:         1256
        .size:           8
        .value_kind:     by_value
      - .offset:         1264
        .size:           8
        .value_kind:     by_value
      - .offset:         1272
        .size:           8
        .value_kind:     by_value
      - .offset:         1280
        .size:           1
        .value_kind:     by_value
      - .offset:         1288
        .size:           4
        .value_kind:     hidden_block_count_x
      - .offset:         1292
        .size:           4
        .value_kind:     hidden_block_count_y
      - .offset:         1296
        .size:           4
        .value_kind:     hidden_block_count_z
      - .offset:         1300
        .size:           2
        .value_kind:     hidden_group_size_x
      - .offset:         1302
        .size:           2
        .value_kind:     hidden_group_size_y
      - .offset:         1304
        .size:           2
        .value_kind:     hidden_group_size_z
      - .offset:         1306
        .size:           2
        .value_kind:     hidden_remainder_x
      - .offset:         1308
        .size:           2
        .value_kind:     hidden_remainder_y
      - .offset:         1310
        .size:           2
        .value_kind:     hidden_remainder_z
      - .offset:         1328
        .size:           8
        .value_kind:     hidden_global_offset_x
      - .offset:         1336
        .size:           8
        .value_kind:     hidden_global_offset_y
      - .offset:         1344
        .size:           8
        .value_kind:     hidden_global_offset_z
      - .offset:         1352
        .size:           2
        .value_kind:     hidden_grid_dims
      - .offset:         1408
        .size:           4
        .value_kind:     hidden_dynamic_lds_size
    .group_segment_fixed_size: 0
    .kernarg_segment_align: 8
    .kernarg_segment_size: 1544
    .language:       OpenCL C
    .language_version:
      - 2
      - 0
    .max_flat_workgroup_size: 512
    .name:           _ZN2at4cuda17kernelHistogram1DIdilLi1ELi2ELin1ELNS0_23CUDAHistogramMemoryTypeE0EZNS0_21CUDA_tensor_histogramIdiLb1EEEbNS_6TensorES4_S4_lNS_14AccumulateTypeIT0_Lb1EE4typeES8_NS0_13TensorArgTypeES9_S9_EUllE0_EEvNS0_6detail10TensorInfoIT_T1_EESF_NSC_IKS6_SE_EElS8_S8_SE_T6_
    .private_segment_fixed_size: 0
    .sgpr_count:     50
    .sgpr_spill_count: 0
    .symbol:         _ZN2at4cuda17kernelHistogram1DIdilLi1ELi2ELin1ELNS0_23CUDAHistogramMemoryTypeE0EZNS0_21CUDA_tensor_histogramIdiLb1EEEbNS_6TensorES4_S4_lNS_14AccumulateTypeIT0_Lb1EE4typeES8_NS0_13TensorArgTypeES9_S9_EUllE0_EEvNS0_6detail10TensorInfoIT_T1_EESF_NSC_IKS6_SE_EElS8_S8_SE_T6_.kd
    .uniform_work_group_size: 1
    .uses_dynamic_stack: false
    .vgpr_count:     24
    .vgpr_spill_count: 0
    .wavefront_size: 64
  - .agpr_count:     0
    .args:
      - .offset:         0
        .size:           416
        .value_kind:     by_value
      - .offset:         416
        .size:           416
        .value_kind:     by_value
      - .offset:         832
        .size:           416
        .value_kind:     by_value
      - .offset:         1248
        .size:           8
        .value_kind:     by_value
      - .offset:         1256
        .size:           8
        .value_kind:     by_value
      - .offset:         1264
        .size:           8
        .value_kind:     by_value
      - .offset:         1272
        .size:           8
        .value_kind:     by_value
      - .offset:         1280
        .size:           1
        .value_kind:     by_value
      - .offset:         1288
        .size:           4
        .value_kind:     hidden_block_count_x
      - .offset:         1292
        .size:           4
        .value_kind:     hidden_block_count_y
      - .offset:         1296
        .size:           4
        .value_kind:     hidden_block_count_z
      - .offset:         1300
        .size:           2
        .value_kind:     hidden_group_size_x
      - .offset:         1302
        .size:           2
        .value_kind:     hidden_group_size_y
      - .offset:         1304
        .size:           2
        .value_kind:     hidden_group_size_z
      - .offset:         1306
        .size:           2
        .value_kind:     hidden_remainder_x
      - .offset:         1308
        .size:           2
        .value_kind:     hidden_remainder_y
      - .offset:         1310
        .size:           2
        .value_kind:     hidden_remainder_z
      - .offset:         1328
        .size:           8
        .value_kind:     hidden_global_offset_x
      - .offset:         1336
        .size:           8
        .value_kind:     hidden_global_offset_y
      - .offset:         1344
        .size:           8
        .value_kind:     hidden_global_offset_z
      - .offset:         1352
        .size:           2
        .value_kind:     hidden_grid_dims
    .group_segment_fixed_size: 0
    .kernarg_segment_align: 8
    .kernarg_segment_size: 1544
    .language:       OpenCL C
    .language_version:
      - 2
      - 0
    .max_flat_workgroup_size: 512
    .name:           _ZN2at4cuda17kernelHistogram1DIdilLi1ELi2ELin1ELNS0_23CUDAHistogramMemoryTypeE1EZNS0_21CUDA_tensor_histogramIdiLb1EEEbNS_6TensorES4_S4_lNS_14AccumulateTypeIT0_Lb1EE4typeES8_NS0_13TensorArgTypeES9_S9_EUllE0_EEvNS0_6detail10TensorInfoIT_T1_EESF_NSC_IKS6_SE_EElS8_S8_SE_T6_
    .private_segment_fixed_size: 0
    .sgpr_count:     45
    .sgpr_spill_count: 0
    .symbol:         _ZN2at4cuda17kernelHistogram1DIdilLi1ELi2ELin1ELNS0_23CUDAHistogramMemoryTypeE1EZNS0_21CUDA_tensor_histogramIdiLb1EEEbNS_6TensorES4_S4_lNS_14AccumulateTypeIT0_Lb1EE4typeES8_NS0_13TensorArgTypeES9_S9_EUllE0_EEvNS0_6detail10TensorInfoIT_T1_EESF_NSC_IKS6_SE_EElS8_S8_SE_T6_.kd
    .uniform_work_group_size: 1
    .uses_dynamic_stack: false
    .vgpr_count:     18
    .vgpr_spill_count: 0
    .wavefront_size: 64
  - .agpr_count:     0
    .args:
      - .offset:         0
        .size:           416
        .value_kind:     by_value
      - .offset:         416
        .size:           416
        .value_kind:     by_value
      - .offset:         832
        .size:           416
        .value_kind:     by_value
      - .offset:         1248
        .size:           8
        .value_kind:     by_value
      - .offset:         1256
        .size:           8
        .value_kind:     by_value
      - .offset:         1264
        .size:           8
        .value_kind:     by_value
      - .offset:         1272
        .size:           8
        .value_kind:     by_value
      - .offset:         1280
        .size:           416
        .value_kind:     by_value
      - .offset:         1696
        .size:           4
        .value_kind:     hidden_block_count_x
      - .offset:         1700
        .size:           4
        .value_kind:     hidden_block_count_y
      - .offset:         1704
        .size:           4
        .value_kind:     hidden_block_count_z
      - .offset:         1708
        .size:           2
        .value_kind:     hidden_group_size_x
      - .offset:         1710
        .size:           2
        .value_kind:     hidden_group_size_y
      - .offset:         1712
        .size:           2
        .value_kind:     hidden_group_size_z
      - .offset:         1714
        .size:           2
        .value_kind:     hidden_remainder_x
      - .offset:         1716
        .size:           2
        .value_kind:     hidden_remainder_y
      - .offset:         1718
        .size:           2
        .value_kind:     hidden_remainder_z
      - .offset:         1736
        .size:           8
        .value_kind:     hidden_global_offset_x
      - .offset:         1744
        .size:           8
        .value_kind:     hidden_global_offset_y
      - .offset:         1752
        .size:           8
        .value_kind:     hidden_global_offset_z
      - .offset:         1760
        .size:           2
        .value_kind:     hidden_grid_dims
      - .offset:         1816
        .size:           4
        .value_kind:     hidden_dynamic_lds_size
    .group_segment_fixed_size: 0
    .kernarg_segment_align: 8
    .kernarg_segment_size: 1952
    .language:       OpenCL C
    .language_version:
      - 2
      - 0
    .max_flat_workgroup_size: 512
    .name:           _ZN2at4cuda17kernelHistogram1DIfllLi1ELi2ELin1ELNS0_23CUDAHistogramMemoryTypeE0EZNS0_21CUDA_tensor_histogramIflLb1EEEbNS_6TensorES4_S4_lNS_14AccumulateTypeIT0_Lb1EE4typeES8_NS0_13TensorArgTypeES9_S9_EUllE_EEvNS0_6detail10TensorInfoIT_T1_EESF_NSC_IKS6_SE_EElS8_S8_SE_T6_
    .private_segment_fixed_size: 0
    .sgpr_count:     53
    .sgpr_spill_count: 0
    .symbol:         _ZN2at4cuda17kernelHistogram1DIfllLi1ELi2ELin1ELNS0_23CUDAHistogramMemoryTypeE0EZNS0_21CUDA_tensor_histogramIflLb1EEEbNS_6TensorES4_S4_lNS_14AccumulateTypeIT0_Lb1EE4typeES8_NS0_13TensorArgTypeES9_S9_EUllE_EEvNS0_6detail10TensorInfoIT_T1_EESF_NSC_IKS6_SE_EElS8_S8_SE_T6_.kd
    .uniform_work_group_size: 1
    .uses_dynamic_stack: false
    .vgpr_count:     22
    .vgpr_spill_count: 0
    .wavefront_size: 64
  - .agpr_count:     0
    .args:
      - .offset:         0
        .size:           416
        .value_kind:     by_value
      - .offset:         416
        .size:           416
        .value_kind:     by_value
      - .offset:         832
        .size:           416
        .value_kind:     by_value
      - .offset:         1248
        .size:           8
        .value_kind:     by_value
      - .offset:         1256
        .size:           8
        .value_kind:     by_value
      - .offset:         1264
        .size:           8
        .value_kind:     by_value
      - .offset:         1272
        .size:           8
        .value_kind:     by_value
      - .offset:         1280
        .size:           416
        .value_kind:     by_value
      - .offset:         1696
        .size:           4
        .value_kind:     hidden_block_count_x
      - .offset:         1700
        .size:           4
        .value_kind:     hidden_block_count_y
      - .offset:         1704
        .size:           4
        .value_kind:     hidden_block_count_z
      - .offset:         1708
        .size:           2
        .value_kind:     hidden_group_size_x
      - .offset:         1710
        .size:           2
        .value_kind:     hidden_group_size_y
      - .offset:         1712
        .size:           2
        .value_kind:     hidden_group_size_z
      - .offset:         1714
        .size:           2
        .value_kind:     hidden_remainder_x
      - .offset:         1716
        .size:           2
        .value_kind:     hidden_remainder_y
      - .offset:         1718
        .size:           2
        .value_kind:     hidden_remainder_z
      - .offset:         1736
        .size:           8
        .value_kind:     hidden_global_offset_x
      - .offset:         1744
        .size:           8
        .value_kind:     hidden_global_offset_y
      - .offset:         1752
        .size:           8
        .value_kind:     hidden_global_offset_z
      - .offset:         1760
        .size:           2
        .value_kind:     hidden_grid_dims
    .group_segment_fixed_size: 0
    .kernarg_segment_align: 8
    .kernarg_segment_size: 1952
    .language:       OpenCL C
    .language_version:
      - 2
      - 0
    .max_flat_workgroup_size: 512
    .name:           _ZN2at4cuda17kernelHistogram1DIfllLi1ELi2ELin1ELNS0_23CUDAHistogramMemoryTypeE1EZNS0_21CUDA_tensor_histogramIflLb1EEEbNS_6TensorES4_S4_lNS_14AccumulateTypeIT0_Lb1EE4typeES8_NS0_13TensorArgTypeES9_S9_EUllE_EEvNS0_6detail10TensorInfoIT_T1_EESF_NSC_IKS6_SE_EElS8_S8_SE_T6_
    .private_segment_fixed_size: 0
    .sgpr_count:     49
    .sgpr_spill_count: 0
    .symbol:         _ZN2at4cuda17kernelHistogram1DIfllLi1ELi2ELin1ELNS0_23CUDAHistogramMemoryTypeE1EZNS0_21CUDA_tensor_histogramIflLb1EEEbNS_6TensorES4_S4_lNS_14AccumulateTypeIT0_Lb1EE4typeES8_NS0_13TensorArgTypeES9_S9_EUllE_EEvNS0_6detail10TensorInfoIT_T1_EESF_NSC_IKS6_SE_EElS8_S8_SE_T6_.kd
    .uniform_work_group_size: 1
    .uses_dynamic_stack: false
    .vgpr_count:     18
    .vgpr_spill_count: 0
    .wavefront_size: 64
  - .agpr_count:     0
    .args:
      - .offset:         0
        .size:           416
        .value_kind:     by_value
      - .offset:         416
        .size:           416
        .value_kind:     by_value
      - .offset:         832
        .size:           416
        .value_kind:     by_value
      - .offset:         1248
        .size:           8
        .value_kind:     by_value
      - .offset:         1256
        .size:           8
        .value_kind:     by_value
      - .offset:         1264
        .size:           8
        .value_kind:     by_value
      - .offset:         1272
        .size:           8
        .value_kind:     by_value
      - .offset:         1280
        .size:           1
        .value_kind:     by_value
      - .offset:         1288
        .size:           4
        .value_kind:     hidden_block_count_x
      - .offset:         1292
        .size:           4
        .value_kind:     hidden_block_count_y
      - .offset:         1296
        .size:           4
        .value_kind:     hidden_block_count_z
      - .offset:         1300
        .size:           2
        .value_kind:     hidden_group_size_x
      - .offset:         1302
        .size:           2
        .value_kind:     hidden_group_size_y
      - .offset:         1304
        .size:           2
        .value_kind:     hidden_group_size_z
      - .offset:         1306
        .size:           2
        .value_kind:     hidden_remainder_x
      - .offset:         1308
        .size:           2
        .value_kind:     hidden_remainder_y
      - .offset:         1310
        .size:           2
        .value_kind:     hidden_remainder_z
      - .offset:         1328
        .size:           8
        .value_kind:     hidden_global_offset_x
      - .offset:         1336
        .size:           8
        .value_kind:     hidden_global_offset_y
      - .offset:         1344
        .size:           8
        .value_kind:     hidden_global_offset_z
      - .offset:         1352
        .size:           2
        .value_kind:     hidden_grid_dims
      - .offset:         1408
        .size:           4
        .value_kind:     hidden_dynamic_lds_size
    .group_segment_fixed_size: 0
    .kernarg_segment_align: 8
    .kernarg_segment_size: 1544
    .language:       OpenCL C
    .language_version:
      - 2
      - 0
    .max_flat_workgroup_size: 512
    .name:           _ZN2at4cuda17kernelHistogram1DIfllLi1ELi2ELin1ELNS0_23CUDAHistogramMemoryTypeE0EZNS0_21CUDA_tensor_histogramIflLb1EEEbNS_6TensorES4_S4_lNS_14AccumulateTypeIT0_Lb1EE4typeES8_NS0_13TensorArgTypeES9_S9_EUllE0_EEvNS0_6detail10TensorInfoIT_T1_EESF_NSC_IKS6_SE_EElS8_S8_SE_T6_
    .private_segment_fixed_size: 0
    .sgpr_count:     49
    .sgpr_spill_count: 0
    .symbol:         _ZN2at4cuda17kernelHistogram1DIfllLi1ELi2ELin1ELNS0_23CUDAHistogramMemoryTypeE0EZNS0_21CUDA_tensor_histogramIflLb1EEEbNS_6TensorES4_S4_lNS_14AccumulateTypeIT0_Lb1EE4typeES8_NS0_13TensorArgTypeES9_S9_EUllE0_EEvNS0_6detail10TensorInfoIT_T1_EESF_NSC_IKS6_SE_EElS8_S8_SE_T6_.kd
    .uniform_work_group_size: 1
    .uses_dynamic_stack: false
    .vgpr_count:     23
    .vgpr_spill_count: 0
    .wavefront_size: 64
  - .agpr_count:     0
    .args:
      - .offset:         0
        .size:           416
        .value_kind:     by_value
      - .offset:         416
        .size:           416
        .value_kind:     by_value
      - .offset:         832
        .size:           416
        .value_kind:     by_value
      - .offset:         1248
        .size:           8
        .value_kind:     by_value
      - .offset:         1256
        .size:           8
        .value_kind:     by_value
      - .offset:         1264
        .size:           8
        .value_kind:     by_value
      - .offset:         1272
        .size:           8
        .value_kind:     by_value
      - .offset:         1280
        .size:           1
        .value_kind:     by_value
      - .offset:         1288
        .size:           4
        .value_kind:     hidden_block_count_x
      - .offset:         1292
        .size:           4
        .value_kind:     hidden_block_count_y
      - .offset:         1296
        .size:           4
        .value_kind:     hidden_block_count_z
      - .offset:         1300
        .size:           2
        .value_kind:     hidden_group_size_x
      - .offset:         1302
        .size:           2
        .value_kind:     hidden_group_size_y
      - .offset:         1304
        .size:           2
        .value_kind:     hidden_group_size_z
      - .offset:         1306
        .size:           2
        .value_kind:     hidden_remainder_x
      - .offset:         1308
        .size:           2
        .value_kind:     hidden_remainder_y
      - .offset:         1310
        .size:           2
        .value_kind:     hidden_remainder_z
      - .offset:         1328
        .size:           8
        .value_kind:     hidden_global_offset_x
      - .offset:         1336
        .size:           8
        .value_kind:     hidden_global_offset_y
      - .offset:         1344
        .size:           8
        .value_kind:     hidden_global_offset_z
      - .offset:         1352
        .size:           2
        .value_kind:     hidden_grid_dims
    .group_segment_fixed_size: 0
    .kernarg_segment_align: 8
    .kernarg_segment_size: 1544
    .language:       OpenCL C
    .language_version:
      - 2
      - 0
    .max_flat_workgroup_size: 512
    .name:           _ZN2at4cuda17kernelHistogram1DIfllLi1ELi2ELin1ELNS0_23CUDAHistogramMemoryTypeE1EZNS0_21CUDA_tensor_histogramIflLb1EEEbNS_6TensorES4_S4_lNS_14AccumulateTypeIT0_Lb1EE4typeES8_NS0_13TensorArgTypeES9_S9_EUllE0_EEvNS0_6detail10TensorInfoIT_T1_EESF_NSC_IKS6_SE_EElS8_S8_SE_T6_
    .private_segment_fixed_size: 0
    .sgpr_count:     45
    .sgpr_spill_count: 0
    .symbol:         _ZN2at4cuda17kernelHistogram1DIfllLi1ELi2ELin1ELNS0_23CUDAHistogramMemoryTypeE1EZNS0_21CUDA_tensor_histogramIflLb1EEEbNS_6TensorES4_S4_lNS_14AccumulateTypeIT0_Lb1EE4typeES8_NS0_13TensorArgTypeES9_S9_EUllE0_EEvNS0_6detail10TensorInfoIT_T1_EESF_NSC_IKS6_SE_EElS8_S8_SE_T6_.kd
    .uniform_work_group_size: 1
    .uses_dynamic_stack: false
    .vgpr_count:     19
    .vgpr_spill_count: 0
    .wavefront_size: 64
  - .agpr_count:     0
    .args:
      - .offset:         0
        .size:           416
        .value_kind:     by_value
      - .offset:         416
        .size:           416
        .value_kind:     by_value
      - .offset:         832
        .size:           416
        .value_kind:     by_value
      - .offset:         1248
        .size:           8
        .value_kind:     by_value
      - .offset:         1256
        .size:           8
        .value_kind:     by_value
      - .offset:         1264
        .size:           8
        .value_kind:     by_value
      - .offset:         1272
        .size:           8
        .value_kind:     by_value
      - .offset:         1280
        .size:           416
        .value_kind:     by_value
      - .offset:         1696
        .size:           4
        .value_kind:     hidden_block_count_x
      - .offset:         1700
        .size:           4
        .value_kind:     hidden_block_count_y
      - .offset:         1704
        .size:           4
        .value_kind:     hidden_block_count_z
      - .offset:         1708
        .size:           2
        .value_kind:     hidden_group_size_x
      - .offset:         1710
        .size:           2
        .value_kind:     hidden_group_size_y
      - .offset:         1712
        .size:           2
        .value_kind:     hidden_group_size_z
      - .offset:         1714
        .size:           2
        .value_kind:     hidden_remainder_x
      - .offset:         1716
        .size:           2
        .value_kind:     hidden_remainder_y
      - .offset:         1718
        .size:           2
        .value_kind:     hidden_remainder_z
      - .offset:         1736
        .size:           8
        .value_kind:     hidden_global_offset_x
      - .offset:         1744
        .size:           8
        .value_kind:     hidden_global_offset_y
      - .offset:         1752
        .size:           8
        .value_kind:     hidden_global_offset_z
      - .offset:         1760
        .size:           2
        .value_kind:     hidden_grid_dims
      - .offset:         1816
        .size:           4
        .value_kind:     hidden_dynamic_lds_size
    .group_segment_fixed_size: 0
    .kernarg_segment_align: 8
    .kernarg_segment_size: 1952
    .language:       OpenCL C
    .language_version:
      - 2
      - 0
    .max_flat_workgroup_size: 512
    .name:           _ZN2at4cuda17kernelHistogram1DIlllLi1ELi2ELin1ELNS0_23CUDAHistogramMemoryTypeE0EZNS0_21CUDA_tensor_histogramIllLb0EEEbNS_6TensorES4_S4_lNS_14AccumulateTypeIT0_Lb1EE4typeES8_NS0_13TensorArgTypeES9_S9_EUllE_EEvNS0_6detail10TensorInfoIT_T1_EESF_NSC_IKS6_SE_EElS8_S8_SE_T6_
    .private_segment_fixed_size: 0
    .sgpr_count:     53
    .sgpr_spill_count: 0
    .symbol:         _ZN2at4cuda17kernelHistogram1DIlllLi1ELi2ELin1ELNS0_23CUDAHistogramMemoryTypeE0EZNS0_21CUDA_tensor_histogramIllLb0EEEbNS_6TensorES4_S4_lNS_14AccumulateTypeIT0_Lb1EE4typeES8_NS0_13TensorArgTypeES9_S9_EUllE_EEvNS0_6detail10TensorInfoIT_T1_EESF_NSC_IKS6_SE_EElS8_S8_SE_T6_.kd
    .uniform_work_group_size: 1
    .uses_dynamic_stack: false
    .vgpr_count:     24
    .vgpr_spill_count: 0
    .wavefront_size: 64
  - .agpr_count:     0
    .args:
      - .offset:         0
        .size:           416
        .value_kind:     by_value
      - .offset:         416
        .size:           416
        .value_kind:     by_value
      - .offset:         832
        .size:           416
        .value_kind:     by_value
      - .offset:         1248
        .size:           8
        .value_kind:     by_value
      - .offset:         1256
        .size:           8
        .value_kind:     by_value
      - .offset:         1264
        .size:           8
        .value_kind:     by_value
      - .offset:         1272
        .size:           8
        .value_kind:     by_value
      - .offset:         1280
        .size:           416
        .value_kind:     by_value
      - .offset:         1696
        .size:           4
        .value_kind:     hidden_block_count_x
      - .offset:         1700
        .size:           4
        .value_kind:     hidden_block_count_y
      - .offset:         1704
        .size:           4
        .value_kind:     hidden_block_count_z
      - .offset:         1708
        .size:           2
        .value_kind:     hidden_group_size_x
      - .offset:         1710
        .size:           2
        .value_kind:     hidden_group_size_y
      - .offset:         1712
        .size:           2
        .value_kind:     hidden_group_size_z
      - .offset:         1714
        .size:           2
        .value_kind:     hidden_remainder_x
      - .offset:         1716
        .size:           2
        .value_kind:     hidden_remainder_y
      - .offset:         1718
        .size:           2
        .value_kind:     hidden_remainder_z
      - .offset:         1736
        .size:           8
        .value_kind:     hidden_global_offset_x
      - .offset:         1744
        .size:           8
        .value_kind:     hidden_global_offset_y
      - .offset:         1752
        .size:           8
        .value_kind:     hidden_global_offset_z
      - .offset:         1760
        .size:           2
        .value_kind:     hidden_grid_dims
    .group_segment_fixed_size: 0
    .kernarg_segment_align: 8
    .kernarg_segment_size: 1952
    .language:       OpenCL C
    .language_version:
      - 2
      - 0
    .max_flat_workgroup_size: 512
    .name:           _ZN2at4cuda17kernelHistogram1DIlllLi1ELi2ELin1ELNS0_23CUDAHistogramMemoryTypeE1EZNS0_21CUDA_tensor_histogramIllLb0EEEbNS_6TensorES4_S4_lNS_14AccumulateTypeIT0_Lb1EE4typeES8_NS0_13TensorArgTypeES9_S9_EUllE_EEvNS0_6detail10TensorInfoIT_T1_EESF_NSC_IKS6_SE_EElS8_S8_SE_T6_
    .private_segment_fixed_size: 0
    .sgpr_count:     49
    .sgpr_spill_count: 0
    .symbol:         _ZN2at4cuda17kernelHistogram1DIlllLi1ELi2ELin1ELNS0_23CUDAHistogramMemoryTypeE1EZNS0_21CUDA_tensor_histogramIllLb0EEEbNS_6TensorES4_S4_lNS_14AccumulateTypeIT0_Lb1EE4typeES8_NS0_13TensorArgTypeES9_S9_EUllE_EEvNS0_6detail10TensorInfoIT_T1_EESF_NSC_IKS6_SE_EElS8_S8_SE_T6_.kd
    .uniform_work_group_size: 1
    .uses_dynamic_stack: false
    .vgpr_count:     18
    .vgpr_spill_count: 0
    .wavefront_size: 64
  - .agpr_count:     0
    .args:
      - .offset:         0
        .size:           416
        .value_kind:     by_value
      - .offset:         416
        .size:           416
        .value_kind:     by_value
      - .offset:         832
        .size:           416
        .value_kind:     by_value
      - .offset:         1248
        .size:           8
        .value_kind:     by_value
      - .offset:         1256
        .size:           8
        .value_kind:     by_value
      - .offset:         1264
        .size:           8
        .value_kind:     by_value
      - .offset:         1272
        .size:           8
        .value_kind:     by_value
      - .offset:         1280
        .size:           1
        .value_kind:     by_value
      - .offset:         1288
        .size:           4
        .value_kind:     hidden_block_count_x
      - .offset:         1292
        .size:           4
        .value_kind:     hidden_block_count_y
      - .offset:         1296
        .size:           4
        .value_kind:     hidden_block_count_z
      - .offset:         1300
        .size:           2
        .value_kind:     hidden_group_size_x
      - .offset:         1302
        .size:           2
        .value_kind:     hidden_group_size_y
      - .offset:         1304
        .size:           2
        .value_kind:     hidden_group_size_z
      - .offset:         1306
        .size:           2
        .value_kind:     hidden_remainder_x
      - .offset:         1308
        .size:           2
        .value_kind:     hidden_remainder_y
      - .offset:         1310
        .size:           2
        .value_kind:     hidden_remainder_z
      - .offset:         1328
        .size:           8
        .value_kind:     hidden_global_offset_x
      - .offset:         1336
        .size:           8
        .value_kind:     hidden_global_offset_y
      - .offset:         1344
        .size:           8
        .value_kind:     hidden_global_offset_z
      - .offset:         1352
        .size:           2
        .value_kind:     hidden_grid_dims
      - .offset:         1408
        .size:           4
        .value_kind:     hidden_dynamic_lds_size
    .group_segment_fixed_size: 0
    .kernarg_segment_align: 8
    .kernarg_segment_size: 1544
    .language:       OpenCL C
    .language_version:
      - 2
      - 0
    .max_flat_workgroup_size: 512
    .name:           _ZN2at4cuda17kernelHistogram1DIlllLi1ELi2ELin1ELNS0_23CUDAHistogramMemoryTypeE0EZNS0_21CUDA_tensor_histogramIllLb0EEEbNS_6TensorES4_S4_lNS_14AccumulateTypeIT0_Lb1EE4typeES8_NS0_13TensorArgTypeES9_S9_EUllE0_EEvNS0_6detail10TensorInfoIT_T1_EESF_NSC_IKS6_SE_EElS8_S8_SE_T6_
    .private_segment_fixed_size: 0
    .sgpr_count:     49
    .sgpr_spill_count: 0
    .symbol:         _ZN2at4cuda17kernelHistogram1DIlllLi1ELi2ELin1ELNS0_23CUDAHistogramMemoryTypeE0EZNS0_21CUDA_tensor_histogramIllLb0EEEbNS_6TensorES4_S4_lNS_14AccumulateTypeIT0_Lb1EE4typeES8_NS0_13TensorArgTypeES9_S9_EUllE0_EEvNS0_6detail10TensorInfoIT_T1_EESF_NSC_IKS6_SE_EElS8_S8_SE_T6_.kd
    .uniform_work_group_size: 1
    .uses_dynamic_stack: false
    .vgpr_count:     24
    .vgpr_spill_count: 0
    .wavefront_size: 64
  - .agpr_count:     0
    .args:
      - .offset:         0
        .size:           416
        .value_kind:     by_value
      - .offset:         416
        .size:           416
        .value_kind:     by_value
      - .offset:         832
        .size:           416
        .value_kind:     by_value
      - .offset:         1248
        .size:           8
        .value_kind:     by_value
      - .offset:         1256
        .size:           8
        .value_kind:     by_value
      - .offset:         1264
        .size:           8
        .value_kind:     by_value
      - .offset:         1272
        .size:           8
        .value_kind:     by_value
      - .offset:         1280
        .size:           1
        .value_kind:     by_value
      - .offset:         1288
        .size:           4
        .value_kind:     hidden_block_count_x
      - .offset:         1292
        .size:           4
        .value_kind:     hidden_block_count_y
      - .offset:         1296
        .size:           4
        .value_kind:     hidden_block_count_z
      - .offset:         1300
        .size:           2
        .value_kind:     hidden_group_size_x
      - .offset:         1302
        .size:           2
        .value_kind:     hidden_group_size_y
      - .offset:         1304
        .size:           2
        .value_kind:     hidden_group_size_z
      - .offset:         1306
        .size:           2
        .value_kind:     hidden_remainder_x
      - .offset:         1308
        .size:           2
        .value_kind:     hidden_remainder_y
      - .offset:         1310
        .size:           2
        .value_kind:     hidden_remainder_z
      - .offset:         1328
        .size:           8
        .value_kind:     hidden_global_offset_x
      - .offset:         1336
        .size:           8
        .value_kind:     hidden_global_offset_y
      - .offset:         1344
        .size:           8
        .value_kind:     hidden_global_offset_z
      - .offset:         1352
        .size:           2
        .value_kind:     hidden_grid_dims
    .group_segment_fixed_size: 0
    .kernarg_segment_align: 8
    .kernarg_segment_size: 1544
    .language:       OpenCL C
    .language_version:
      - 2
      - 0
    .max_flat_workgroup_size: 512
    .name:           _ZN2at4cuda17kernelHistogram1DIlllLi1ELi2ELin1ELNS0_23CUDAHistogramMemoryTypeE1EZNS0_21CUDA_tensor_histogramIllLb0EEEbNS_6TensorES4_S4_lNS_14AccumulateTypeIT0_Lb1EE4typeES8_NS0_13TensorArgTypeES9_S9_EUllE0_EEvNS0_6detail10TensorInfoIT_T1_EESF_NSC_IKS6_SE_EElS8_S8_SE_T6_
    .private_segment_fixed_size: 0
    .sgpr_count:     45
    .sgpr_spill_count: 0
    .symbol:         _ZN2at4cuda17kernelHistogram1DIlllLi1ELi2ELin1ELNS0_23CUDAHistogramMemoryTypeE1EZNS0_21CUDA_tensor_histogramIllLb0EEEbNS_6TensorES4_S4_lNS_14AccumulateTypeIT0_Lb1EE4typeES8_NS0_13TensorArgTypeES9_S9_EUllE0_EEvNS0_6detail10TensorInfoIT_T1_EESF_NSC_IKS6_SE_EElS8_S8_SE_T6_.kd
    .uniform_work_group_size: 1
    .uses_dynamic_stack: false
    .vgpr_count:     18
    .vgpr_spill_count: 0
    .wavefront_size: 64
  - .agpr_count:     0
    .args:
      - .offset:         0
        .size:           416
        .value_kind:     by_value
      - .offset:         416
        .size:           416
        .value_kind:     by_value
      - .offset:         832
        .size:           416
        .value_kind:     by_value
      - .offset:         1248
        .size:           8
        .value_kind:     by_value
      - .offset:         1256
        .size:           8
        .value_kind:     by_value
      - .offset:         1264
        .size:           8
        .value_kind:     by_value
      - .offset:         1272
        .size:           8
        .value_kind:     by_value
      - .offset:         1280
        .size:           416
        .value_kind:     by_value
      - .offset:         1696
        .size:           4
        .value_kind:     hidden_block_count_x
      - .offset:         1700
        .size:           4
        .value_kind:     hidden_block_count_y
      - .offset:         1704
        .size:           4
        .value_kind:     hidden_block_count_z
      - .offset:         1708
        .size:           2
        .value_kind:     hidden_group_size_x
      - .offset:         1710
        .size:           2
        .value_kind:     hidden_group_size_y
      - .offset:         1712
        .size:           2
        .value_kind:     hidden_group_size_z
      - .offset:         1714
        .size:           2
        .value_kind:     hidden_remainder_x
      - .offset:         1716
        .size:           2
        .value_kind:     hidden_remainder_y
      - .offset:         1718
        .size:           2
        .value_kind:     hidden_remainder_z
      - .offset:         1736
        .size:           8
        .value_kind:     hidden_global_offset_x
      - .offset:         1744
        .size:           8
        .value_kind:     hidden_global_offset_y
      - .offset:         1752
        .size:           8
        .value_kind:     hidden_global_offset_z
      - .offset:         1760
        .size:           2
        .value_kind:     hidden_grid_dims
      - .offset:         1816
        .size:           4
        .value_kind:     hidden_dynamic_lds_size
    .group_segment_fixed_size: 0
    .kernarg_segment_align: 8
    .kernarg_segment_size: 1952
    .language:       OpenCL C
    .language_version:
      - 2
      - 0
    .max_flat_workgroup_size: 512
    .name:           _ZN2at4cuda17kernelHistogram1DIdllLi1ELi2ELin1ELNS0_23CUDAHistogramMemoryTypeE0EZNS0_21CUDA_tensor_histogramIdlLb1EEEbNS_6TensorES4_S4_lNS_14AccumulateTypeIT0_Lb1EE4typeES8_NS0_13TensorArgTypeES9_S9_EUllE_EEvNS0_6detail10TensorInfoIT_T1_EESF_NSC_IKS6_SE_EElS8_S8_SE_T6_
    .private_segment_fixed_size: 0
    .sgpr_count:     54
    .sgpr_spill_count: 0
    .symbol:         _ZN2at4cuda17kernelHistogram1DIdllLi1ELi2ELin1ELNS0_23CUDAHistogramMemoryTypeE0EZNS0_21CUDA_tensor_histogramIdlLb1EEEbNS_6TensorES4_S4_lNS_14AccumulateTypeIT0_Lb1EE4typeES8_NS0_13TensorArgTypeES9_S9_EUllE_EEvNS0_6detail10TensorInfoIT_T1_EESF_NSC_IKS6_SE_EElS8_S8_SE_T6_.kd
    .uniform_work_group_size: 1
    .uses_dynamic_stack: false
    .vgpr_count:     24
    .vgpr_spill_count: 0
    .wavefront_size: 64
  - .agpr_count:     0
    .args:
      - .offset:         0
        .size:           416
        .value_kind:     by_value
      - .offset:         416
        .size:           416
        .value_kind:     by_value
      - .offset:         832
        .size:           416
        .value_kind:     by_value
      - .offset:         1248
        .size:           8
        .value_kind:     by_value
      - .offset:         1256
        .size:           8
        .value_kind:     by_value
      - .offset:         1264
        .size:           8
        .value_kind:     by_value
      - .offset:         1272
        .size:           8
        .value_kind:     by_value
      - .offset:         1280
        .size:           416
        .value_kind:     by_value
      - .offset:         1696
        .size:           4
        .value_kind:     hidden_block_count_x
      - .offset:         1700
        .size:           4
        .value_kind:     hidden_block_count_y
      - .offset:         1704
        .size:           4
        .value_kind:     hidden_block_count_z
      - .offset:         1708
        .size:           2
        .value_kind:     hidden_group_size_x
      - .offset:         1710
        .size:           2
        .value_kind:     hidden_group_size_y
      - .offset:         1712
        .size:           2
        .value_kind:     hidden_group_size_z
      - .offset:         1714
        .size:           2
        .value_kind:     hidden_remainder_x
      - .offset:         1716
        .size:           2
        .value_kind:     hidden_remainder_y
      - .offset:         1718
        .size:           2
        .value_kind:     hidden_remainder_z
      - .offset:         1736
        .size:           8
        .value_kind:     hidden_global_offset_x
      - .offset:         1744
        .size:           8
        .value_kind:     hidden_global_offset_y
      - .offset:         1752
        .size:           8
        .value_kind:     hidden_global_offset_z
      - .offset:         1760
        .size:           2
        .value_kind:     hidden_grid_dims
    .group_segment_fixed_size: 0
    .kernarg_segment_align: 8
    .kernarg_segment_size: 1952
    .language:       OpenCL C
    .language_version:
      - 2
      - 0
    .max_flat_workgroup_size: 512
    .name:           _ZN2at4cuda17kernelHistogram1DIdllLi1ELi2ELin1ELNS0_23CUDAHistogramMemoryTypeE1EZNS0_21CUDA_tensor_histogramIdlLb1EEEbNS_6TensorES4_S4_lNS_14AccumulateTypeIT0_Lb1EE4typeES8_NS0_13TensorArgTypeES9_S9_EUllE_EEvNS0_6detail10TensorInfoIT_T1_EESF_NSC_IKS6_SE_EElS8_S8_SE_T6_
    .private_segment_fixed_size: 0
    .sgpr_count:     49
    .sgpr_spill_count: 0
    .symbol:         _ZN2at4cuda17kernelHistogram1DIdllLi1ELi2ELin1ELNS0_23CUDAHistogramMemoryTypeE1EZNS0_21CUDA_tensor_histogramIdlLb1EEEbNS_6TensorES4_S4_lNS_14AccumulateTypeIT0_Lb1EE4typeES8_NS0_13TensorArgTypeES9_S9_EUllE_EEvNS0_6detail10TensorInfoIT_T1_EESF_NSC_IKS6_SE_EElS8_S8_SE_T6_.kd
    .uniform_work_group_size: 1
    .uses_dynamic_stack: false
    .vgpr_count:     18
    .vgpr_spill_count: 0
    .wavefront_size: 64
  - .agpr_count:     0
    .args:
      - .offset:         0
        .size:           416
        .value_kind:     by_value
      - .offset:         416
        .size:           416
        .value_kind:     by_value
      - .offset:         832
        .size:           416
        .value_kind:     by_value
      - .offset:         1248
        .size:           8
        .value_kind:     by_value
      - .offset:         1256
        .size:           8
        .value_kind:     by_value
      - .offset:         1264
        .size:           8
        .value_kind:     by_value
      - .offset:         1272
        .size:           8
        .value_kind:     by_value
      - .offset:         1280
        .size:           1
        .value_kind:     by_value
      - .offset:         1288
        .size:           4
        .value_kind:     hidden_block_count_x
      - .offset:         1292
        .size:           4
        .value_kind:     hidden_block_count_y
      - .offset:         1296
        .size:           4
        .value_kind:     hidden_block_count_z
      - .offset:         1300
        .size:           2
        .value_kind:     hidden_group_size_x
      - .offset:         1302
        .size:           2
        .value_kind:     hidden_group_size_y
      - .offset:         1304
        .size:           2
        .value_kind:     hidden_group_size_z
      - .offset:         1306
        .size:           2
        .value_kind:     hidden_remainder_x
      - .offset:         1308
        .size:           2
        .value_kind:     hidden_remainder_y
      - .offset:         1310
        .size:           2
        .value_kind:     hidden_remainder_z
      - .offset:         1328
        .size:           8
        .value_kind:     hidden_global_offset_x
      - .offset:         1336
        .size:           8
        .value_kind:     hidden_global_offset_y
      - .offset:         1344
        .size:           8
        .value_kind:     hidden_global_offset_z
      - .offset:         1352
        .size:           2
        .value_kind:     hidden_grid_dims
      - .offset:         1408
        .size:           4
        .value_kind:     hidden_dynamic_lds_size
    .group_segment_fixed_size: 0
    .kernarg_segment_align: 8
    .kernarg_segment_size: 1544
    .language:       OpenCL C
    .language_version:
      - 2
      - 0
    .max_flat_workgroup_size: 512
    .name:           _ZN2at4cuda17kernelHistogram1DIdllLi1ELi2ELin1ELNS0_23CUDAHistogramMemoryTypeE0EZNS0_21CUDA_tensor_histogramIdlLb1EEEbNS_6TensorES4_S4_lNS_14AccumulateTypeIT0_Lb1EE4typeES8_NS0_13TensorArgTypeES9_S9_EUllE0_EEvNS0_6detail10TensorInfoIT_T1_EESF_NSC_IKS6_SE_EElS8_S8_SE_T6_
    .private_segment_fixed_size: 0
    .sgpr_count:     50
    .sgpr_spill_count: 0
    .symbol:         _ZN2at4cuda17kernelHistogram1DIdllLi1ELi2ELin1ELNS0_23CUDAHistogramMemoryTypeE0EZNS0_21CUDA_tensor_histogramIdlLb1EEEbNS_6TensorES4_S4_lNS_14AccumulateTypeIT0_Lb1EE4typeES8_NS0_13TensorArgTypeES9_S9_EUllE0_EEvNS0_6detail10TensorInfoIT_T1_EESF_NSC_IKS6_SE_EElS8_S8_SE_T6_.kd
    .uniform_work_group_size: 1
    .uses_dynamic_stack: false
    .vgpr_count:     24
    .vgpr_spill_count: 0
    .wavefront_size: 64
  - .agpr_count:     0
    .args:
      - .offset:         0
        .size:           416
        .value_kind:     by_value
      - .offset:         416
        .size:           416
        .value_kind:     by_value
      - .offset:         832
        .size:           416
        .value_kind:     by_value
      - .offset:         1248
        .size:           8
        .value_kind:     by_value
      - .offset:         1256
        .size:           8
        .value_kind:     by_value
      - .offset:         1264
        .size:           8
        .value_kind:     by_value
      - .offset:         1272
        .size:           8
        .value_kind:     by_value
      - .offset:         1280
        .size:           1
        .value_kind:     by_value
      - .offset:         1288
        .size:           4
        .value_kind:     hidden_block_count_x
      - .offset:         1292
        .size:           4
        .value_kind:     hidden_block_count_y
      - .offset:         1296
        .size:           4
        .value_kind:     hidden_block_count_z
      - .offset:         1300
        .size:           2
        .value_kind:     hidden_group_size_x
      - .offset:         1302
        .size:           2
        .value_kind:     hidden_group_size_y
      - .offset:         1304
        .size:           2
        .value_kind:     hidden_group_size_z
      - .offset:         1306
        .size:           2
        .value_kind:     hidden_remainder_x
      - .offset:         1308
        .size:           2
        .value_kind:     hidden_remainder_y
      - .offset:         1310
        .size:           2
        .value_kind:     hidden_remainder_z
      - .offset:         1328
        .size:           8
        .value_kind:     hidden_global_offset_x
      - .offset:         1336
        .size:           8
        .value_kind:     hidden_global_offset_y
      - .offset:         1344
        .size:           8
        .value_kind:     hidden_global_offset_z
      - .offset:         1352
        .size:           2
        .value_kind:     hidden_grid_dims
    .group_segment_fixed_size: 0
    .kernarg_segment_align: 8
    .kernarg_segment_size: 1544
    .language:       OpenCL C
    .language_version:
      - 2
      - 0
    .max_flat_workgroup_size: 512
    .name:           _ZN2at4cuda17kernelHistogram1DIdllLi1ELi2ELin1ELNS0_23CUDAHistogramMemoryTypeE1EZNS0_21CUDA_tensor_histogramIdlLb1EEEbNS_6TensorES4_S4_lNS_14AccumulateTypeIT0_Lb1EE4typeES8_NS0_13TensorArgTypeES9_S9_EUllE0_EEvNS0_6detail10TensorInfoIT_T1_EESF_NSC_IKS6_SE_EElS8_S8_SE_T6_
    .private_segment_fixed_size: 0
    .sgpr_count:     45
    .sgpr_spill_count: 0
    .symbol:         _ZN2at4cuda17kernelHistogram1DIdllLi1ELi2ELin1ELNS0_23CUDAHistogramMemoryTypeE1EZNS0_21CUDA_tensor_histogramIdlLb1EEEbNS_6TensorES4_S4_lNS_14AccumulateTypeIT0_Lb1EE4typeES8_NS0_13TensorArgTypeES9_S9_EUllE0_EEvNS0_6detail10TensorInfoIT_T1_EESF_NSC_IKS6_SE_EElS8_S8_SE_T6_.kd
    .uniform_work_group_size: 1
    .uses_dynamic_stack: false
    .vgpr_count:     18
    .vgpr_spill_count: 0
    .wavefront_size: 64
  - .agpr_count:     0
    .args:
      - .offset:         0
        .size:           416
        .value_kind:     by_value
      - .offset:         416
        .size:           416
        .value_kind:     by_value
      - .offset:         832
        .size:           416
        .value_kind:     by_value
      - .offset:         1248
        .size:           8
        .value_kind:     by_value
      - .offset:         1256
        .size:           8
        .value_kind:     by_value
      - .offset:         1264
        .size:           8
        .value_kind:     by_value
      - .offset:         1272
        .size:           8
        .value_kind:     by_value
      - .offset:         1280
        .size:           416
        .value_kind:     by_value
      - .offset:         1696
        .size:           4
        .value_kind:     hidden_block_count_x
      - .offset:         1700
        .size:           4
        .value_kind:     hidden_block_count_y
      - .offset:         1704
        .size:           4
        .value_kind:     hidden_block_count_z
      - .offset:         1708
        .size:           2
        .value_kind:     hidden_group_size_x
      - .offset:         1710
        .size:           2
        .value_kind:     hidden_group_size_y
      - .offset:         1712
        .size:           2
        .value_kind:     hidden_group_size_z
      - .offset:         1714
        .size:           2
        .value_kind:     hidden_remainder_x
      - .offset:         1716
        .size:           2
        .value_kind:     hidden_remainder_y
      - .offset:         1718
        .size:           2
        .value_kind:     hidden_remainder_z
      - .offset:         1736
        .size:           8
        .value_kind:     hidden_global_offset_x
      - .offset:         1744
        .size:           8
        .value_kind:     hidden_global_offset_y
      - .offset:         1752
        .size:           8
        .value_kind:     hidden_global_offset_z
      - .offset:         1760
        .size:           2
        .value_kind:     hidden_grid_dims
      - .offset:         1816
        .size:           4
        .value_kind:     hidden_dynamic_lds_size
    .group_segment_fixed_size: 0
    .kernarg_segment_align: 8
    .kernarg_segment_size: 1952
    .language:       OpenCL C
    .language_version:
      - 2
      - 0
    .max_flat_workgroup_size: 512
    .name:           _ZN2at4cuda17kernelHistogram1DIfslLi1ELi2ELin1ELNS0_23CUDAHistogramMemoryTypeE0EZNS0_21CUDA_tensor_histogramIfsLb1EEEbNS_6TensorES4_S4_lNS_14AccumulateTypeIT0_Lb1EE4typeES8_NS0_13TensorArgTypeES9_S9_EUllE_EEvNS0_6detail10TensorInfoIT_T1_EESF_NSC_IKS6_SE_EElS8_S8_SE_T6_
    .private_segment_fixed_size: 0
    .sgpr_count:     53
    .sgpr_spill_count: 0
    .symbol:         _ZN2at4cuda17kernelHistogram1DIfslLi1ELi2ELin1ELNS0_23CUDAHistogramMemoryTypeE0EZNS0_21CUDA_tensor_histogramIfsLb1EEEbNS_6TensorES4_S4_lNS_14AccumulateTypeIT0_Lb1EE4typeES8_NS0_13TensorArgTypeES9_S9_EUllE_EEvNS0_6detail10TensorInfoIT_T1_EESF_NSC_IKS6_SE_EElS8_S8_SE_T6_.kd
    .uniform_work_group_size: 1
    .uses_dynamic_stack: false
    .vgpr_count:     22
    .vgpr_spill_count: 0
    .wavefront_size: 64
  - .agpr_count:     0
    .args:
      - .offset:         0
        .size:           416
        .value_kind:     by_value
      - .offset:         416
        .size:           416
        .value_kind:     by_value
      - .offset:         832
        .size:           416
        .value_kind:     by_value
      - .offset:         1248
        .size:           8
        .value_kind:     by_value
      - .offset:         1256
        .size:           8
        .value_kind:     by_value
      - .offset:         1264
        .size:           8
        .value_kind:     by_value
      - .offset:         1272
        .size:           8
        .value_kind:     by_value
      - .offset:         1280
        .size:           416
        .value_kind:     by_value
      - .offset:         1696
        .size:           4
        .value_kind:     hidden_block_count_x
      - .offset:         1700
        .size:           4
        .value_kind:     hidden_block_count_y
      - .offset:         1704
        .size:           4
        .value_kind:     hidden_block_count_z
      - .offset:         1708
        .size:           2
        .value_kind:     hidden_group_size_x
      - .offset:         1710
        .size:           2
        .value_kind:     hidden_group_size_y
      - .offset:         1712
        .size:           2
        .value_kind:     hidden_group_size_z
      - .offset:         1714
        .size:           2
        .value_kind:     hidden_remainder_x
      - .offset:         1716
        .size:           2
        .value_kind:     hidden_remainder_y
      - .offset:         1718
        .size:           2
        .value_kind:     hidden_remainder_z
      - .offset:         1736
        .size:           8
        .value_kind:     hidden_global_offset_x
      - .offset:         1744
        .size:           8
        .value_kind:     hidden_global_offset_y
      - .offset:         1752
        .size:           8
        .value_kind:     hidden_global_offset_z
      - .offset:         1760
        .size:           2
        .value_kind:     hidden_grid_dims
    .group_segment_fixed_size: 0
    .kernarg_segment_align: 8
    .kernarg_segment_size: 1952
    .language:       OpenCL C
    .language_version:
      - 2
      - 0
    .max_flat_workgroup_size: 512
    .name:           _ZN2at4cuda17kernelHistogram1DIfslLi1ELi2ELin1ELNS0_23CUDAHistogramMemoryTypeE1EZNS0_21CUDA_tensor_histogramIfsLb1EEEbNS_6TensorES4_S4_lNS_14AccumulateTypeIT0_Lb1EE4typeES8_NS0_13TensorArgTypeES9_S9_EUllE_EEvNS0_6detail10TensorInfoIT_T1_EESF_NSC_IKS6_SE_EElS8_S8_SE_T6_
    .private_segment_fixed_size: 0
    .sgpr_count:     49
    .sgpr_spill_count: 0
    .symbol:         _ZN2at4cuda17kernelHistogram1DIfslLi1ELi2ELin1ELNS0_23CUDAHistogramMemoryTypeE1EZNS0_21CUDA_tensor_histogramIfsLb1EEEbNS_6TensorES4_S4_lNS_14AccumulateTypeIT0_Lb1EE4typeES8_NS0_13TensorArgTypeES9_S9_EUllE_EEvNS0_6detail10TensorInfoIT_T1_EESF_NSC_IKS6_SE_EElS8_S8_SE_T6_.kd
    .uniform_work_group_size: 1
    .uses_dynamic_stack: false
    .vgpr_count:     18
    .vgpr_spill_count: 0
    .wavefront_size: 64
  - .agpr_count:     0
    .args:
      - .offset:         0
        .size:           416
        .value_kind:     by_value
      - .offset:         416
        .size:           416
        .value_kind:     by_value
      - .offset:         832
        .size:           416
        .value_kind:     by_value
      - .offset:         1248
        .size:           8
        .value_kind:     by_value
      - .offset:         1256
        .size:           8
        .value_kind:     by_value
      - .offset:         1264
        .size:           8
        .value_kind:     by_value
      - .offset:         1272
        .size:           8
        .value_kind:     by_value
      - .offset:         1280
        .size:           1
        .value_kind:     by_value
      - .offset:         1288
        .size:           4
        .value_kind:     hidden_block_count_x
      - .offset:         1292
        .size:           4
        .value_kind:     hidden_block_count_y
      - .offset:         1296
        .size:           4
        .value_kind:     hidden_block_count_z
      - .offset:         1300
        .size:           2
        .value_kind:     hidden_group_size_x
      - .offset:         1302
        .size:           2
        .value_kind:     hidden_group_size_y
      - .offset:         1304
        .size:           2
        .value_kind:     hidden_group_size_z
      - .offset:         1306
        .size:           2
        .value_kind:     hidden_remainder_x
      - .offset:         1308
        .size:           2
        .value_kind:     hidden_remainder_y
      - .offset:         1310
        .size:           2
        .value_kind:     hidden_remainder_z
      - .offset:         1328
        .size:           8
        .value_kind:     hidden_global_offset_x
      - .offset:         1336
        .size:           8
        .value_kind:     hidden_global_offset_y
      - .offset:         1344
        .size:           8
        .value_kind:     hidden_global_offset_z
      - .offset:         1352
        .size:           2
        .value_kind:     hidden_grid_dims
      - .offset:         1408
        .size:           4
        .value_kind:     hidden_dynamic_lds_size
    .group_segment_fixed_size: 0
    .kernarg_segment_align: 8
    .kernarg_segment_size: 1544
    .language:       OpenCL C
    .language_version:
      - 2
      - 0
    .max_flat_workgroup_size: 512
    .name:           _ZN2at4cuda17kernelHistogram1DIfslLi1ELi2ELin1ELNS0_23CUDAHistogramMemoryTypeE0EZNS0_21CUDA_tensor_histogramIfsLb1EEEbNS_6TensorES4_S4_lNS_14AccumulateTypeIT0_Lb1EE4typeES8_NS0_13TensorArgTypeES9_S9_EUllE0_EEvNS0_6detail10TensorInfoIT_T1_EESF_NSC_IKS6_SE_EElS8_S8_SE_T6_
    .private_segment_fixed_size: 0
    .sgpr_count:     49
    .sgpr_spill_count: 0
    .symbol:         _ZN2at4cuda17kernelHistogram1DIfslLi1ELi2ELin1ELNS0_23CUDAHistogramMemoryTypeE0EZNS0_21CUDA_tensor_histogramIfsLb1EEEbNS_6TensorES4_S4_lNS_14AccumulateTypeIT0_Lb1EE4typeES8_NS0_13TensorArgTypeES9_S9_EUllE0_EEvNS0_6detail10TensorInfoIT_T1_EESF_NSC_IKS6_SE_EElS8_S8_SE_T6_.kd
    .uniform_work_group_size: 1
    .uses_dynamic_stack: false
    .vgpr_count:     23
    .vgpr_spill_count: 0
    .wavefront_size: 64
  - .agpr_count:     0
    .args:
      - .offset:         0
        .size:           416
        .value_kind:     by_value
      - .offset:         416
        .size:           416
        .value_kind:     by_value
      - .offset:         832
        .size:           416
        .value_kind:     by_value
      - .offset:         1248
        .size:           8
        .value_kind:     by_value
      - .offset:         1256
        .size:           8
        .value_kind:     by_value
      - .offset:         1264
        .size:           8
        .value_kind:     by_value
      - .offset:         1272
        .size:           8
        .value_kind:     by_value
      - .offset:         1280
        .size:           1
        .value_kind:     by_value
      - .offset:         1288
        .size:           4
        .value_kind:     hidden_block_count_x
      - .offset:         1292
        .size:           4
        .value_kind:     hidden_block_count_y
      - .offset:         1296
        .size:           4
        .value_kind:     hidden_block_count_z
      - .offset:         1300
        .size:           2
        .value_kind:     hidden_group_size_x
      - .offset:         1302
        .size:           2
        .value_kind:     hidden_group_size_y
      - .offset:         1304
        .size:           2
        .value_kind:     hidden_group_size_z
      - .offset:         1306
        .size:           2
        .value_kind:     hidden_remainder_x
      - .offset:         1308
        .size:           2
        .value_kind:     hidden_remainder_y
      - .offset:         1310
        .size:           2
        .value_kind:     hidden_remainder_z
      - .offset:         1328
        .size:           8
        .value_kind:     hidden_global_offset_x
      - .offset:         1336
        .size:           8
        .value_kind:     hidden_global_offset_y
      - .offset:         1344
        .size:           8
        .value_kind:     hidden_global_offset_z
      - .offset:         1352
        .size:           2
        .value_kind:     hidden_grid_dims
    .group_segment_fixed_size: 0
    .kernarg_segment_align: 8
    .kernarg_segment_size: 1544
    .language:       OpenCL C
    .language_version:
      - 2
      - 0
    .max_flat_workgroup_size: 512
    .name:           _ZN2at4cuda17kernelHistogram1DIfslLi1ELi2ELin1ELNS0_23CUDAHistogramMemoryTypeE1EZNS0_21CUDA_tensor_histogramIfsLb1EEEbNS_6TensorES4_S4_lNS_14AccumulateTypeIT0_Lb1EE4typeES8_NS0_13TensorArgTypeES9_S9_EUllE0_EEvNS0_6detail10TensorInfoIT_T1_EESF_NSC_IKS6_SE_EElS8_S8_SE_T6_
    .private_segment_fixed_size: 0
    .sgpr_count:     45
    .sgpr_spill_count: 0
    .symbol:         _ZN2at4cuda17kernelHistogram1DIfslLi1ELi2ELin1ELNS0_23CUDAHistogramMemoryTypeE1EZNS0_21CUDA_tensor_histogramIfsLb1EEEbNS_6TensorES4_S4_lNS_14AccumulateTypeIT0_Lb1EE4typeES8_NS0_13TensorArgTypeES9_S9_EUllE0_EEvNS0_6detail10TensorInfoIT_T1_EESF_NSC_IKS6_SE_EElS8_S8_SE_T6_.kd
    .uniform_work_group_size: 1
    .uses_dynamic_stack: false
    .vgpr_count:     19
    .vgpr_spill_count: 0
    .wavefront_size: 64
  - .agpr_count:     0
    .args:
      - .offset:         0
        .size:           416
        .value_kind:     by_value
      - .offset:         416
        .size:           416
        .value_kind:     by_value
      - .offset:         832
        .size:           416
        .value_kind:     by_value
      - .offset:         1248
        .size:           8
        .value_kind:     by_value
      - .offset:         1256
        .size:           8
        .value_kind:     by_value
      - .offset:         1264
        .size:           8
        .value_kind:     by_value
      - .offset:         1272
        .size:           8
        .value_kind:     by_value
      - .offset:         1280
        .size:           416
        .value_kind:     by_value
      - .offset:         1696
        .size:           4
        .value_kind:     hidden_block_count_x
      - .offset:         1700
        .size:           4
        .value_kind:     hidden_block_count_y
      - .offset:         1704
        .size:           4
        .value_kind:     hidden_block_count_z
      - .offset:         1708
        .size:           2
        .value_kind:     hidden_group_size_x
      - .offset:         1710
        .size:           2
        .value_kind:     hidden_group_size_y
      - .offset:         1712
        .size:           2
        .value_kind:     hidden_group_size_z
      - .offset:         1714
        .size:           2
        .value_kind:     hidden_remainder_x
      - .offset:         1716
        .size:           2
        .value_kind:     hidden_remainder_y
      - .offset:         1718
        .size:           2
        .value_kind:     hidden_remainder_z
      - .offset:         1736
        .size:           8
        .value_kind:     hidden_global_offset_x
      - .offset:         1744
        .size:           8
        .value_kind:     hidden_global_offset_y
      - .offset:         1752
        .size:           8
        .value_kind:     hidden_global_offset_z
      - .offset:         1760
        .size:           2
        .value_kind:     hidden_grid_dims
      - .offset:         1816
        .size:           4
        .value_kind:     hidden_dynamic_lds_size
    .group_segment_fixed_size: 0
    .kernarg_segment_align: 8
    .kernarg_segment_size: 1952
    .language:       OpenCL C
    .language_version:
      - 2
      - 0
    .max_flat_workgroup_size: 512
    .name:           _ZN2at4cuda17kernelHistogram1DIlslLi1ELi2ELin1ELNS0_23CUDAHistogramMemoryTypeE0EZNS0_21CUDA_tensor_histogramIlsLb0EEEbNS_6TensorES4_S4_lNS_14AccumulateTypeIT0_Lb1EE4typeES8_NS0_13TensorArgTypeES9_S9_EUllE_EEvNS0_6detail10TensorInfoIT_T1_EESF_NSC_IKS6_SE_EElS8_S8_SE_T6_
    .private_segment_fixed_size: 0
    .sgpr_count:     53
    .sgpr_spill_count: 0
    .symbol:         _ZN2at4cuda17kernelHistogram1DIlslLi1ELi2ELin1ELNS0_23CUDAHistogramMemoryTypeE0EZNS0_21CUDA_tensor_histogramIlsLb0EEEbNS_6TensorES4_S4_lNS_14AccumulateTypeIT0_Lb1EE4typeES8_NS0_13TensorArgTypeES9_S9_EUllE_EEvNS0_6detail10TensorInfoIT_T1_EESF_NSC_IKS6_SE_EElS8_S8_SE_T6_.kd
    .uniform_work_group_size: 1
    .uses_dynamic_stack: false
    .vgpr_count:     24
    .vgpr_spill_count: 0
    .wavefront_size: 64
  - .agpr_count:     0
    .args:
      - .offset:         0
        .size:           416
        .value_kind:     by_value
      - .offset:         416
        .size:           416
        .value_kind:     by_value
      - .offset:         832
        .size:           416
        .value_kind:     by_value
      - .offset:         1248
        .size:           8
        .value_kind:     by_value
      - .offset:         1256
        .size:           8
        .value_kind:     by_value
      - .offset:         1264
        .size:           8
        .value_kind:     by_value
      - .offset:         1272
        .size:           8
        .value_kind:     by_value
      - .offset:         1280
        .size:           416
        .value_kind:     by_value
      - .offset:         1696
        .size:           4
        .value_kind:     hidden_block_count_x
      - .offset:         1700
        .size:           4
        .value_kind:     hidden_block_count_y
      - .offset:         1704
        .size:           4
        .value_kind:     hidden_block_count_z
      - .offset:         1708
        .size:           2
        .value_kind:     hidden_group_size_x
      - .offset:         1710
        .size:           2
        .value_kind:     hidden_group_size_y
      - .offset:         1712
        .size:           2
        .value_kind:     hidden_group_size_z
      - .offset:         1714
        .size:           2
        .value_kind:     hidden_remainder_x
      - .offset:         1716
        .size:           2
        .value_kind:     hidden_remainder_y
      - .offset:         1718
        .size:           2
        .value_kind:     hidden_remainder_z
      - .offset:         1736
        .size:           8
        .value_kind:     hidden_global_offset_x
      - .offset:         1744
        .size:           8
        .value_kind:     hidden_global_offset_y
      - .offset:         1752
        .size:           8
        .value_kind:     hidden_global_offset_z
      - .offset:         1760
        .size:           2
        .value_kind:     hidden_grid_dims
    .group_segment_fixed_size: 0
    .kernarg_segment_align: 8
    .kernarg_segment_size: 1952
    .language:       OpenCL C
    .language_version:
      - 2
      - 0
    .max_flat_workgroup_size: 512
    .name:           _ZN2at4cuda17kernelHistogram1DIlslLi1ELi2ELin1ELNS0_23CUDAHistogramMemoryTypeE1EZNS0_21CUDA_tensor_histogramIlsLb0EEEbNS_6TensorES4_S4_lNS_14AccumulateTypeIT0_Lb1EE4typeES8_NS0_13TensorArgTypeES9_S9_EUllE_EEvNS0_6detail10TensorInfoIT_T1_EESF_NSC_IKS6_SE_EElS8_S8_SE_T6_
    .private_segment_fixed_size: 0
    .sgpr_count:     49
    .sgpr_spill_count: 0
    .symbol:         _ZN2at4cuda17kernelHistogram1DIlslLi1ELi2ELin1ELNS0_23CUDAHistogramMemoryTypeE1EZNS0_21CUDA_tensor_histogramIlsLb0EEEbNS_6TensorES4_S4_lNS_14AccumulateTypeIT0_Lb1EE4typeES8_NS0_13TensorArgTypeES9_S9_EUllE_EEvNS0_6detail10TensorInfoIT_T1_EESF_NSC_IKS6_SE_EElS8_S8_SE_T6_.kd
    .uniform_work_group_size: 1
    .uses_dynamic_stack: false
    .vgpr_count:     18
    .vgpr_spill_count: 0
    .wavefront_size: 64
  - .agpr_count:     0
    .args:
      - .offset:         0
        .size:           416
        .value_kind:     by_value
      - .offset:         416
        .size:           416
        .value_kind:     by_value
      - .offset:         832
        .size:           416
        .value_kind:     by_value
      - .offset:         1248
        .size:           8
        .value_kind:     by_value
      - .offset:         1256
        .size:           8
        .value_kind:     by_value
      - .offset:         1264
        .size:           8
        .value_kind:     by_value
      - .offset:         1272
        .size:           8
        .value_kind:     by_value
      - .offset:         1280
        .size:           1
        .value_kind:     by_value
      - .offset:         1288
        .size:           4
        .value_kind:     hidden_block_count_x
      - .offset:         1292
        .size:           4
        .value_kind:     hidden_block_count_y
      - .offset:         1296
        .size:           4
        .value_kind:     hidden_block_count_z
      - .offset:         1300
        .size:           2
        .value_kind:     hidden_group_size_x
      - .offset:         1302
        .size:           2
        .value_kind:     hidden_group_size_y
      - .offset:         1304
        .size:           2
        .value_kind:     hidden_group_size_z
      - .offset:         1306
        .size:           2
        .value_kind:     hidden_remainder_x
      - .offset:         1308
        .size:           2
        .value_kind:     hidden_remainder_y
      - .offset:         1310
        .size:           2
        .value_kind:     hidden_remainder_z
      - .offset:         1328
        .size:           8
        .value_kind:     hidden_global_offset_x
      - .offset:         1336
        .size:           8
        .value_kind:     hidden_global_offset_y
      - .offset:         1344
        .size:           8
        .value_kind:     hidden_global_offset_z
      - .offset:         1352
        .size:           2
        .value_kind:     hidden_grid_dims
      - .offset:         1408
        .size:           4
        .value_kind:     hidden_dynamic_lds_size
    .group_segment_fixed_size: 0
    .kernarg_segment_align: 8
    .kernarg_segment_size: 1544
    .language:       OpenCL C
    .language_version:
      - 2
      - 0
    .max_flat_workgroup_size: 512
    .name:           _ZN2at4cuda17kernelHistogram1DIlslLi1ELi2ELin1ELNS0_23CUDAHistogramMemoryTypeE0EZNS0_21CUDA_tensor_histogramIlsLb0EEEbNS_6TensorES4_S4_lNS_14AccumulateTypeIT0_Lb1EE4typeES8_NS0_13TensorArgTypeES9_S9_EUllE0_EEvNS0_6detail10TensorInfoIT_T1_EESF_NSC_IKS6_SE_EElS8_S8_SE_T6_
    .private_segment_fixed_size: 0
    .sgpr_count:     49
    .sgpr_spill_count: 0
    .symbol:         _ZN2at4cuda17kernelHistogram1DIlslLi1ELi2ELin1ELNS0_23CUDAHistogramMemoryTypeE0EZNS0_21CUDA_tensor_histogramIlsLb0EEEbNS_6TensorES4_S4_lNS_14AccumulateTypeIT0_Lb1EE4typeES8_NS0_13TensorArgTypeES9_S9_EUllE0_EEvNS0_6detail10TensorInfoIT_T1_EESF_NSC_IKS6_SE_EElS8_S8_SE_T6_.kd
    .uniform_work_group_size: 1
    .uses_dynamic_stack: false
    .vgpr_count:     24
    .vgpr_spill_count: 0
    .wavefront_size: 64
  - .agpr_count:     0
    .args:
      - .offset:         0
        .size:           416
        .value_kind:     by_value
      - .offset:         416
        .size:           416
        .value_kind:     by_value
      - .offset:         832
        .size:           416
        .value_kind:     by_value
      - .offset:         1248
        .size:           8
        .value_kind:     by_value
      - .offset:         1256
        .size:           8
        .value_kind:     by_value
      - .offset:         1264
        .size:           8
        .value_kind:     by_value
      - .offset:         1272
        .size:           8
        .value_kind:     by_value
      - .offset:         1280
        .size:           1
        .value_kind:     by_value
      - .offset:         1288
        .size:           4
        .value_kind:     hidden_block_count_x
      - .offset:         1292
        .size:           4
        .value_kind:     hidden_block_count_y
      - .offset:         1296
        .size:           4
        .value_kind:     hidden_block_count_z
      - .offset:         1300
        .size:           2
        .value_kind:     hidden_group_size_x
      - .offset:         1302
        .size:           2
        .value_kind:     hidden_group_size_y
      - .offset:         1304
        .size:           2
        .value_kind:     hidden_group_size_z
      - .offset:         1306
        .size:           2
        .value_kind:     hidden_remainder_x
      - .offset:         1308
        .size:           2
        .value_kind:     hidden_remainder_y
      - .offset:         1310
        .size:           2
        .value_kind:     hidden_remainder_z
      - .offset:         1328
        .size:           8
        .value_kind:     hidden_global_offset_x
      - .offset:         1336
        .size:           8
        .value_kind:     hidden_global_offset_y
      - .offset:         1344
        .size:           8
        .value_kind:     hidden_global_offset_z
      - .offset:         1352
        .size:           2
        .value_kind:     hidden_grid_dims
    .group_segment_fixed_size: 0
    .kernarg_segment_align: 8
    .kernarg_segment_size: 1544
    .language:       OpenCL C
    .language_version:
      - 2
      - 0
    .max_flat_workgroup_size: 512
    .name:           _ZN2at4cuda17kernelHistogram1DIlslLi1ELi2ELin1ELNS0_23CUDAHistogramMemoryTypeE1EZNS0_21CUDA_tensor_histogramIlsLb0EEEbNS_6TensorES4_S4_lNS_14AccumulateTypeIT0_Lb1EE4typeES8_NS0_13TensorArgTypeES9_S9_EUllE0_EEvNS0_6detail10TensorInfoIT_T1_EESF_NSC_IKS6_SE_EElS8_S8_SE_T6_
    .private_segment_fixed_size: 0
    .sgpr_count:     45
    .sgpr_spill_count: 0
    .symbol:         _ZN2at4cuda17kernelHistogram1DIlslLi1ELi2ELin1ELNS0_23CUDAHistogramMemoryTypeE1EZNS0_21CUDA_tensor_histogramIlsLb0EEEbNS_6TensorES4_S4_lNS_14AccumulateTypeIT0_Lb1EE4typeES8_NS0_13TensorArgTypeES9_S9_EUllE0_EEvNS0_6detail10TensorInfoIT_T1_EESF_NSC_IKS6_SE_EElS8_S8_SE_T6_.kd
    .uniform_work_group_size: 1
    .uses_dynamic_stack: false
    .vgpr_count:     18
    .vgpr_spill_count: 0
    .wavefront_size: 64
  - .agpr_count:     0
    .args:
      - .offset:         0
        .size:           416
        .value_kind:     by_value
      - .offset:         416
        .size:           416
        .value_kind:     by_value
      - .offset:         832
        .size:           416
        .value_kind:     by_value
      - .offset:         1248
        .size:           8
        .value_kind:     by_value
      - .offset:         1256
        .size:           8
        .value_kind:     by_value
      - .offset:         1264
        .size:           8
        .value_kind:     by_value
      - .offset:         1272
        .size:           8
        .value_kind:     by_value
      - .offset:         1280
        .size:           416
        .value_kind:     by_value
      - .offset:         1696
        .size:           4
        .value_kind:     hidden_block_count_x
      - .offset:         1700
        .size:           4
        .value_kind:     hidden_block_count_y
      - .offset:         1704
        .size:           4
        .value_kind:     hidden_block_count_z
      - .offset:         1708
        .size:           2
        .value_kind:     hidden_group_size_x
      - .offset:         1710
        .size:           2
        .value_kind:     hidden_group_size_y
      - .offset:         1712
        .size:           2
        .value_kind:     hidden_group_size_z
      - .offset:         1714
        .size:           2
        .value_kind:     hidden_remainder_x
      - .offset:         1716
        .size:           2
        .value_kind:     hidden_remainder_y
      - .offset:         1718
        .size:           2
        .value_kind:     hidden_remainder_z
      - .offset:         1736
        .size:           8
        .value_kind:     hidden_global_offset_x
      - .offset:         1744
        .size:           8
        .value_kind:     hidden_global_offset_y
      - .offset:         1752
        .size:           8
        .value_kind:     hidden_global_offset_z
      - .offset:         1760
        .size:           2
        .value_kind:     hidden_grid_dims
      - .offset:         1816
        .size:           4
        .value_kind:     hidden_dynamic_lds_size
    .group_segment_fixed_size: 0
    .kernarg_segment_align: 8
    .kernarg_segment_size: 1952
    .language:       OpenCL C
    .language_version:
      - 2
      - 0
    .max_flat_workgroup_size: 512
    .name:           _ZN2at4cuda17kernelHistogram1DIdslLi1ELi2ELin1ELNS0_23CUDAHistogramMemoryTypeE0EZNS0_21CUDA_tensor_histogramIdsLb1EEEbNS_6TensorES4_S4_lNS_14AccumulateTypeIT0_Lb1EE4typeES8_NS0_13TensorArgTypeES9_S9_EUllE_EEvNS0_6detail10TensorInfoIT_T1_EESF_NSC_IKS6_SE_EElS8_S8_SE_T6_
    .private_segment_fixed_size: 0
    .sgpr_count:     54
    .sgpr_spill_count: 0
    .symbol:         _ZN2at4cuda17kernelHistogram1DIdslLi1ELi2ELin1ELNS0_23CUDAHistogramMemoryTypeE0EZNS0_21CUDA_tensor_histogramIdsLb1EEEbNS_6TensorES4_S4_lNS_14AccumulateTypeIT0_Lb1EE4typeES8_NS0_13TensorArgTypeES9_S9_EUllE_EEvNS0_6detail10TensorInfoIT_T1_EESF_NSC_IKS6_SE_EElS8_S8_SE_T6_.kd
    .uniform_work_group_size: 1
    .uses_dynamic_stack: false
    .vgpr_count:     24
    .vgpr_spill_count: 0
    .wavefront_size: 64
  - .agpr_count:     0
    .args:
      - .offset:         0
        .size:           416
        .value_kind:     by_value
      - .offset:         416
        .size:           416
        .value_kind:     by_value
      - .offset:         832
        .size:           416
        .value_kind:     by_value
      - .offset:         1248
        .size:           8
        .value_kind:     by_value
      - .offset:         1256
        .size:           8
        .value_kind:     by_value
      - .offset:         1264
        .size:           8
        .value_kind:     by_value
      - .offset:         1272
        .size:           8
        .value_kind:     by_value
      - .offset:         1280
        .size:           416
        .value_kind:     by_value
      - .offset:         1696
        .size:           4
        .value_kind:     hidden_block_count_x
      - .offset:         1700
        .size:           4
        .value_kind:     hidden_block_count_y
      - .offset:         1704
        .size:           4
        .value_kind:     hidden_block_count_z
      - .offset:         1708
        .size:           2
        .value_kind:     hidden_group_size_x
      - .offset:         1710
        .size:           2
        .value_kind:     hidden_group_size_y
      - .offset:         1712
        .size:           2
        .value_kind:     hidden_group_size_z
      - .offset:         1714
        .size:           2
        .value_kind:     hidden_remainder_x
      - .offset:         1716
        .size:           2
        .value_kind:     hidden_remainder_y
      - .offset:         1718
        .size:           2
        .value_kind:     hidden_remainder_z
      - .offset:         1736
        .size:           8
        .value_kind:     hidden_global_offset_x
      - .offset:         1744
        .size:           8
        .value_kind:     hidden_global_offset_y
      - .offset:         1752
        .size:           8
        .value_kind:     hidden_global_offset_z
      - .offset:         1760
        .size:           2
        .value_kind:     hidden_grid_dims
    .group_segment_fixed_size: 0
    .kernarg_segment_align: 8
    .kernarg_segment_size: 1952
    .language:       OpenCL C
    .language_version:
      - 2
      - 0
    .max_flat_workgroup_size: 512
    .name:           _ZN2at4cuda17kernelHistogram1DIdslLi1ELi2ELin1ELNS0_23CUDAHistogramMemoryTypeE1EZNS0_21CUDA_tensor_histogramIdsLb1EEEbNS_6TensorES4_S4_lNS_14AccumulateTypeIT0_Lb1EE4typeES8_NS0_13TensorArgTypeES9_S9_EUllE_EEvNS0_6detail10TensorInfoIT_T1_EESF_NSC_IKS6_SE_EElS8_S8_SE_T6_
    .private_segment_fixed_size: 0
    .sgpr_count:     49
    .sgpr_spill_count: 0
    .symbol:         _ZN2at4cuda17kernelHistogram1DIdslLi1ELi2ELin1ELNS0_23CUDAHistogramMemoryTypeE1EZNS0_21CUDA_tensor_histogramIdsLb1EEEbNS_6TensorES4_S4_lNS_14AccumulateTypeIT0_Lb1EE4typeES8_NS0_13TensorArgTypeES9_S9_EUllE_EEvNS0_6detail10TensorInfoIT_T1_EESF_NSC_IKS6_SE_EElS8_S8_SE_T6_.kd
    .uniform_work_group_size: 1
    .uses_dynamic_stack: false
    .vgpr_count:     18
    .vgpr_spill_count: 0
    .wavefront_size: 64
  - .agpr_count:     0
    .args:
      - .offset:         0
        .size:           416
        .value_kind:     by_value
      - .offset:         416
        .size:           416
        .value_kind:     by_value
      - .offset:         832
        .size:           416
        .value_kind:     by_value
      - .offset:         1248
        .size:           8
        .value_kind:     by_value
      - .offset:         1256
        .size:           8
        .value_kind:     by_value
      - .offset:         1264
        .size:           8
        .value_kind:     by_value
      - .offset:         1272
        .size:           8
        .value_kind:     by_value
      - .offset:         1280
        .size:           1
        .value_kind:     by_value
      - .offset:         1288
        .size:           4
        .value_kind:     hidden_block_count_x
      - .offset:         1292
        .size:           4
        .value_kind:     hidden_block_count_y
      - .offset:         1296
        .size:           4
        .value_kind:     hidden_block_count_z
      - .offset:         1300
        .size:           2
        .value_kind:     hidden_group_size_x
      - .offset:         1302
        .size:           2
        .value_kind:     hidden_group_size_y
      - .offset:         1304
        .size:           2
        .value_kind:     hidden_group_size_z
      - .offset:         1306
        .size:           2
        .value_kind:     hidden_remainder_x
      - .offset:         1308
        .size:           2
        .value_kind:     hidden_remainder_y
      - .offset:         1310
        .size:           2
        .value_kind:     hidden_remainder_z
      - .offset:         1328
        .size:           8
        .value_kind:     hidden_global_offset_x
      - .offset:         1336
        .size:           8
        .value_kind:     hidden_global_offset_y
      - .offset:         1344
        .size:           8
        .value_kind:     hidden_global_offset_z
      - .offset:         1352
        .size:           2
        .value_kind:     hidden_grid_dims
      - .offset:         1408
        .size:           4
        .value_kind:     hidden_dynamic_lds_size
    .group_segment_fixed_size: 0
    .kernarg_segment_align: 8
    .kernarg_segment_size: 1544
    .language:       OpenCL C
    .language_version:
      - 2
      - 0
    .max_flat_workgroup_size: 512
    .name:           _ZN2at4cuda17kernelHistogram1DIdslLi1ELi2ELin1ELNS0_23CUDAHistogramMemoryTypeE0EZNS0_21CUDA_tensor_histogramIdsLb1EEEbNS_6TensorES4_S4_lNS_14AccumulateTypeIT0_Lb1EE4typeES8_NS0_13TensorArgTypeES9_S9_EUllE0_EEvNS0_6detail10TensorInfoIT_T1_EESF_NSC_IKS6_SE_EElS8_S8_SE_T6_
    .private_segment_fixed_size: 0
    .sgpr_count:     50
    .sgpr_spill_count: 0
    .symbol:         _ZN2at4cuda17kernelHistogram1DIdslLi1ELi2ELin1ELNS0_23CUDAHistogramMemoryTypeE0EZNS0_21CUDA_tensor_histogramIdsLb1EEEbNS_6TensorES4_S4_lNS_14AccumulateTypeIT0_Lb1EE4typeES8_NS0_13TensorArgTypeES9_S9_EUllE0_EEvNS0_6detail10TensorInfoIT_T1_EESF_NSC_IKS6_SE_EElS8_S8_SE_T6_.kd
    .uniform_work_group_size: 1
    .uses_dynamic_stack: false
    .vgpr_count:     24
    .vgpr_spill_count: 0
    .wavefront_size: 64
  - .agpr_count:     0
    .args:
      - .offset:         0
        .size:           416
        .value_kind:     by_value
      - .offset:         416
        .size:           416
        .value_kind:     by_value
      - .offset:         832
        .size:           416
        .value_kind:     by_value
      - .offset:         1248
        .size:           8
        .value_kind:     by_value
      - .offset:         1256
        .size:           8
        .value_kind:     by_value
      - .offset:         1264
        .size:           8
        .value_kind:     by_value
      - .offset:         1272
        .size:           8
        .value_kind:     by_value
      - .offset:         1280
        .size:           1
        .value_kind:     by_value
      - .offset:         1288
        .size:           4
        .value_kind:     hidden_block_count_x
      - .offset:         1292
        .size:           4
        .value_kind:     hidden_block_count_y
      - .offset:         1296
        .size:           4
        .value_kind:     hidden_block_count_z
      - .offset:         1300
        .size:           2
        .value_kind:     hidden_group_size_x
      - .offset:         1302
        .size:           2
        .value_kind:     hidden_group_size_y
      - .offset:         1304
        .size:           2
        .value_kind:     hidden_group_size_z
      - .offset:         1306
        .size:           2
        .value_kind:     hidden_remainder_x
      - .offset:         1308
        .size:           2
        .value_kind:     hidden_remainder_y
      - .offset:         1310
        .size:           2
        .value_kind:     hidden_remainder_z
      - .offset:         1328
        .size:           8
        .value_kind:     hidden_global_offset_x
      - .offset:         1336
        .size:           8
        .value_kind:     hidden_global_offset_y
      - .offset:         1344
        .size:           8
        .value_kind:     hidden_global_offset_z
      - .offset:         1352
        .size:           2
        .value_kind:     hidden_grid_dims
    .group_segment_fixed_size: 0
    .kernarg_segment_align: 8
    .kernarg_segment_size: 1544
    .language:       OpenCL C
    .language_version:
      - 2
      - 0
    .max_flat_workgroup_size: 512
    .name:           _ZN2at4cuda17kernelHistogram1DIdslLi1ELi2ELin1ELNS0_23CUDAHistogramMemoryTypeE1EZNS0_21CUDA_tensor_histogramIdsLb1EEEbNS_6TensorES4_S4_lNS_14AccumulateTypeIT0_Lb1EE4typeES8_NS0_13TensorArgTypeES9_S9_EUllE0_EEvNS0_6detail10TensorInfoIT_T1_EESF_NSC_IKS6_SE_EElS8_S8_SE_T6_
    .private_segment_fixed_size: 0
    .sgpr_count:     45
    .sgpr_spill_count: 0
    .symbol:         _ZN2at4cuda17kernelHistogram1DIdslLi1ELi2ELin1ELNS0_23CUDAHistogramMemoryTypeE1EZNS0_21CUDA_tensor_histogramIdsLb1EEEbNS_6TensorES4_S4_lNS_14AccumulateTypeIT0_Lb1EE4typeES8_NS0_13TensorArgTypeES9_S9_EUllE0_EEvNS0_6detail10TensorInfoIT_T1_EESF_NSC_IKS6_SE_EElS8_S8_SE_T6_.kd
    .uniform_work_group_size: 1
    .uses_dynamic_stack: false
    .vgpr_count:     18
    .vgpr_spill_count: 0
    .wavefront_size: 64
  - .agpr_count:     0
    .args:
      - .offset:         0
        .size:           416
        .value_kind:     by_value
      - .offset:         416
        .size:           416
        .value_kind:     by_value
      - .offset:         832
        .size:           416
        .value_kind:     by_value
      - .offset:         1248
        .size:           8
        .value_kind:     by_value
      - .offset:         1256
        .size:           8
        .value_kind:     by_value
      - .offset:         1264
        .size:           8
        .value_kind:     by_value
      - .offset:         1272
        .size:           8
        .value_kind:     by_value
      - .offset:         1280
        .size:           416
        .value_kind:     by_value
      - .offset:         1696
        .size:           4
        .value_kind:     hidden_block_count_x
      - .offset:         1700
        .size:           4
        .value_kind:     hidden_block_count_y
      - .offset:         1704
        .size:           4
        .value_kind:     hidden_block_count_z
      - .offset:         1708
        .size:           2
        .value_kind:     hidden_group_size_x
      - .offset:         1710
        .size:           2
        .value_kind:     hidden_group_size_y
      - .offset:         1712
        .size:           2
        .value_kind:     hidden_group_size_z
      - .offset:         1714
        .size:           2
        .value_kind:     hidden_remainder_x
      - .offset:         1716
        .size:           2
        .value_kind:     hidden_remainder_y
      - .offset:         1718
        .size:           2
        .value_kind:     hidden_remainder_z
      - .offset:         1736
        .size:           8
        .value_kind:     hidden_global_offset_x
      - .offset:         1744
        .size:           8
        .value_kind:     hidden_global_offset_y
      - .offset:         1752
        .size:           8
        .value_kind:     hidden_global_offset_z
      - .offset:         1760
        .size:           2
        .value_kind:     hidden_grid_dims
      - .offset:         1816
        .size:           4
        .value_kind:     hidden_dynamic_lds_size
    .group_segment_fixed_size: 0
    .kernarg_segment_align: 8
    .kernarg_segment_size: 1952
    .language:       OpenCL C
    .language_version:
      - 2
      - 0
    .max_flat_workgroup_size: 512
    .name:           _ZN2at4cuda17kernelHistogram1DIhhlLi1ELi2ELin1ELNS0_23CUDAHistogramMemoryTypeE0EZNS0_21CUDA_tensor_histogramIhhLb0EEEbNS_6TensorES4_S4_lNS_14AccumulateTypeIT0_Lb1EE4typeES8_NS0_13TensorArgTypeES9_S9_EUllE_EEvNS0_6detail10TensorInfoIT_T1_EESF_NSC_IKS6_SE_EElS8_S8_SE_T6_
    .private_segment_fixed_size: 0
    .sgpr_count:     55
    .sgpr_spill_count: 0
    .symbol:         _ZN2at4cuda17kernelHistogram1DIhhlLi1ELi2ELin1ELNS0_23CUDAHistogramMemoryTypeE0EZNS0_21CUDA_tensor_histogramIhhLb0EEEbNS_6TensorES4_S4_lNS_14AccumulateTypeIT0_Lb1EE4typeES8_NS0_13TensorArgTypeES9_S9_EUllE_EEvNS0_6detail10TensorInfoIT_T1_EESF_NSC_IKS6_SE_EElS8_S8_SE_T6_.kd
    .uniform_work_group_size: 1
    .uses_dynamic_stack: false
    .vgpr_count:     22
    .vgpr_spill_count: 0
    .wavefront_size: 64
  - .agpr_count:     0
    .args:
      - .offset:         0
        .size:           416
        .value_kind:     by_value
      - .offset:         416
        .size:           416
        .value_kind:     by_value
      - .offset:         832
        .size:           416
        .value_kind:     by_value
      - .offset:         1248
        .size:           8
        .value_kind:     by_value
      - .offset:         1256
        .size:           8
        .value_kind:     by_value
      - .offset:         1264
        .size:           8
        .value_kind:     by_value
      - .offset:         1272
        .size:           8
        .value_kind:     by_value
      - .offset:         1280
        .size:           416
        .value_kind:     by_value
      - .offset:         1696
        .size:           4
        .value_kind:     hidden_block_count_x
      - .offset:         1700
        .size:           4
        .value_kind:     hidden_block_count_y
      - .offset:         1704
        .size:           4
        .value_kind:     hidden_block_count_z
      - .offset:         1708
        .size:           2
        .value_kind:     hidden_group_size_x
      - .offset:         1710
        .size:           2
        .value_kind:     hidden_group_size_y
      - .offset:         1712
        .size:           2
        .value_kind:     hidden_group_size_z
      - .offset:         1714
        .size:           2
        .value_kind:     hidden_remainder_x
      - .offset:         1716
        .size:           2
        .value_kind:     hidden_remainder_y
      - .offset:         1718
        .size:           2
        .value_kind:     hidden_remainder_z
      - .offset:         1736
        .size:           8
        .value_kind:     hidden_global_offset_x
      - .offset:         1744
        .size:           8
        .value_kind:     hidden_global_offset_y
      - .offset:         1752
        .size:           8
        .value_kind:     hidden_global_offset_z
      - .offset:         1760
        .size:           2
        .value_kind:     hidden_grid_dims
    .group_segment_fixed_size: 0
    .kernarg_segment_align: 8
    .kernarg_segment_size: 1952
    .language:       OpenCL C
    .language_version:
      - 2
      - 0
    .max_flat_workgroup_size: 512
    .name:           _ZN2at4cuda17kernelHistogram1DIhhlLi1ELi2ELin1ELNS0_23CUDAHistogramMemoryTypeE1EZNS0_21CUDA_tensor_histogramIhhLb0EEEbNS_6TensorES4_S4_lNS_14AccumulateTypeIT0_Lb1EE4typeES8_NS0_13TensorArgTypeES9_S9_EUllE_EEvNS0_6detail10TensorInfoIT_T1_EESF_NSC_IKS6_SE_EElS8_S8_SE_T6_
    .private_segment_fixed_size: 0
    .sgpr_count:     50
    .sgpr_spill_count: 0
    .symbol:         _ZN2at4cuda17kernelHistogram1DIhhlLi1ELi2ELin1ELNS0_23CUDAHistogramMemoryTypeE1EZNS0_21CUDA_tensor_histogramIhhLb0EEEbNS_6TensorES4_S4_lNS_14AccumulateTypeIT0_Lb1EE4typeES8_NS0_13TensorArgTypeES9_S9_EUllE_EEvNS0_6detail10TensorInfoIT_T1_EESF_NSC_IKS6_SE_EElS8_S8_SE_T6_.kd
    .uniform_work_group_size: 1
    .uses_dynamic_stack: false
    .vgpr_count:     18
    .vgpr_spill_count: 0
    .wavefront_size: 64
  - .agpr_count:     0
    .args:
      - .offset:         0
        .size:           416
        .value_kind:     by_value
      - .offset:         416
        .size:           416
        .value_kind:     by_value
      - .offset:         832
        .size:           416
        .value_kind:     by_value
      - .offset:         1248
        .size:           8
        .value_kind:     by_value
      - .offset:         1256
        .size:           8
        .value_kind:     by_value
      - .offset:         1264
        .size:           8
        .value_kind:     by_value
      - .offset:         1272
        .size:           8
        .value_kind:     by_value
      - .offset:         1280
        .size:           1
        .value_kind:     by_value
      - .offset:         1288
        .size:           4
        .value_kind:     hidden_block_count_x
      - .offset:         1292
        .size:           4
        .value_kind:     hidden_block_count_y
      - .offset:         1296
        .size:           4
        .value_kind:     hidden_block_count_z
      - .offset:         1300
        .size:           2
        .value_kind:     hidden_group_size_x
      - .offset:         1302
        .size:           2
        .value_kind:     hidden_group_size_y
      - .offset:         1304
        .size:           2
        .value_kind:     hidden_group_size_z
      - .offset:         1306
        .size:           2
        .value_kind:     hidden_remainder_x
      - .offset:         1308
        .size:           2
        .value_kind:     hidden_remainder_y
      - .offset:         1310
        .size:           2
        .value_kind:     hidden_remainder_z
      - .offset:         1328
        .size:           8
        .value_kind:     hidden_global_offset_x
      - .offset:         1336
        .size:           8
        .value_kind:     hidden_global_offset_y
      - .offset:         1344
        .size:           8
        .value_kind:     hidden_global_offset_z
      - .offset:         1352
        .size:           2
        .value_kind:     hidden_grid_dims
      - .offset:         1408
        .size:           4
        .value_kind:     hidden_dynamic_lds_size
    .group_segment_fixed_size: 0
    .kernarg_segment_align: 8
    .kernarg_segment_size: 1544
    .language:       OpenCL C
    .language_version:
      - 2
      - 0
    .max_flat_workgroup_size: 512
    .name:           _ZN2at4cuda17kernelHistogram1DIhhlLi1ELi2ELin1ELNS0_23CUDAHistogramMemoryTypeE0EZNS0_21CUDA_tensor_histogramIhhLb0EEEbNS_6TensorES4_S4_lNS_14AccumulateTypeIT0_Lb1EE4typeES8_NS0_13TensorArgTypeES9_S9_EUllE0_EEvNS0_6detail10TensorInfoIT_T1_EESF_NSC_IKS6_SE_EElS8_S8_SE_T6_
    .private_segment_fixed_size: 0
    .sgpr_count:     51
    .sgpr_spill_count: 0
    .symbol:         _ZN2at4cuda17kernelHistogram1DIhhlLi1ELi2ELin1ELNS0_23CUDAHistogramMemoryTypeE0EZNS0_21CUDA_tensor_histogramIhhLb0EEEbNS_6TensorES4_S4_lNS_14AccumulateTypeIT0_Lb1EE4typeES8_NS0_13TensorArgTypeES9_S9_EUllE0_EEvNS0_6detail10TensorInfoIT_T1_EESF_NSC_IKS6_SE_EElS8_S8_SE_T6_.kd
    .uniform_work_group_size: 1
    .uses_dynamic_stack: false
    .vgpr_count:     22
    .vgpr_spill_count: 0
    .wavefront_size: 64
  - .agpr_count:     0
    .args:
      - .offset:         0
        .size:           416
        .value_kind:     by_value
      - .offset:         416
        .size:           416
        .value_kind:     by_value
      - .offset:         832
        .size:           416
        .value_kind:     by_value
      - .offset:         1248
        .size:           8
        .value_kind:     by_value
      - .offset:         1256
        .size:           8
        .value_kind:     by_value
      - .offset:         1264
        .size:           8
        .value_kind:     by_value
      - .offset:         1272
        .size:           8
        .value_kind:     by_value
      - .offset:         1280
        .size:           1
        .value_kind:     by_value
      - .offset:         1288
        .size:           4
        .value_kind:     hidden_block_count_x
      - .offset:         1292
        .size:           4
        .value_kind:     hidden_block_count_y
      - .offset:         1296
        .size:           4
        .value_kind:     hidden_block_count_z
      - .offset:         1300
        .size:           2
        .value_kind:     hidden_group_size_x
      - .offset:         1302
        .size:           2
        .value_kind:     hidden_group_size_y
      - .offset:         1304
        .size:           2
        .value_kind:     hidden_group_size_z
      - .offset:         1306
        .size:           2
        .value_kind:     hidden_remainder_x
      - .offset:         1308
        .size:           2
        .value_kind:     hidden_remainder_y
      - .offset:         1310
        .size:           2
        .value_kind:     hidden_remainder_z
      - .offset:         1328
        .size:           8
        .value_kind:     hidden_global_offset_x
      - .offset:         1336
        .size:           8
        .value_kind:     hidden_global_offset_y
      - .offset:         1344
        .size:           8
        .value_kind:     hidden_global_offset_z
      - .offset:         1352
        .size:           2
        .value_kind:     hidden_grid_dims
    .group_segment_fixed_size: 0
    .kernarg_segment_align: 8
    .kernarg_segment_size: 1544
    .language:       OpenCL C
    .language_version:
      - 2
      - 0
    .max_flat_workgroup_size: 512
    .name:           _ZN2at4cuda17kernelHistogram1DIhhlLi1ELi2ELin1ELNS0_23CUDAHistogramMemoryTypeE1EZNS0_21CUDA_tensor_histogramIhhLb0EEEbNS_6TensorES4_S4_lNS_14AccumulateTypeIT0_Lb1EE4typeES8_NS0_13TensorArgTypeES9_S9_EUllE0_EEvNS0_6detail10TensorInfoIT_T1_EESF_NSC_IKS6_SE_EElS8_S8_SE_T6_
    .private_segment_fixed_size: 0
    .sgpr_count:     46
    .sgpr_spill_count: 0
    .symbol:         _ZN2at4cuda17kernelHistogram1DIhhlLi1ELi2ELin1ELNS0_23CUDAHistogramMemoryTypeE1EZNS0_21CUDA_tensor_histogramIhhLb0EEEbNS_6TensorES4_S4_lNS_14AccumulateTypeIT0_Lb1EE4typeES8_NS0_13TensorArgTypeES9_S9_EUllE0_EEvNS0_6detail10TensorInfoIT_T1_EESF_NSC_IKS6_SE_EElS8_S8_SE_T6_.kd
    .uniform_work_group_size: 1
    .uses_dynamic_stack: false
    .vgpr_count:     18
    .vgpr_spill_count: 0
    .wavefront_size: 64
  - .agpr_count:     0
    .args:
      - .offset:         0
        .size:           416
        .value_kind:     by_value
      - .offset:         416
        .size:           416
        .value_kind:     by_value
      - .offset:         832
        .size:           416
        .value_kind:     by_value
      - .offset:         1248
        .size:           8
        .value_kind:     by_value
      - .offset:         1256
        .size:           8
        .value_kind:     by_value
      - .offset:         1264
        .size:           8
        .value_kind:     by_value
      - .offset:         1272
        .size:           8
        .value_kind:     by_value
      - .offset:         1280
        .size:           416
        .value_kind:     by_value
      - .offset:         1696
        .size:           4
        .value_kind:     hidden_block_count_x
      - .offset:         1700
        .size:           4
        .value_kind:     hidden_block_count_y
      - .offset:         1704
        .size:           4
        .value_kind:     hidden_block_count_z
      - .offset:         1708
        .size:           2
        .value_kind:     hidden_group_size_x
      - .offset:         1710
        .size:           2
        .value_kind:     hidden_group_size_y
      - .offset:         1712
        .size:           2
        .value_kind:     hidden_group_size_z
      - .offset:         1714
        .size:           2
        .value_kind:     hidden_remainder_x
      - .offset:         1716
        .size:           2
        .value_kind:     hidden_remainder_y
      - .offset:         1718
        .size:           2
        .value_kind:     hidden_remainder_z
      - .offset:         1736
        .size:           8
        .value_kind:     hidden_global_offset_x
      - .offset:         1744
        .size:           8
        .value_kind:     hidden_global_offset_y
      - .offset:         1752
        .size:           8
        .value_kind:     hidden_global_offset_z
      - .offset:         1760
        .size:           2
        .value_kind:     hidden_grid_dims
      - .offset:         1816
        .size:           4
        .value_kind:     hidden_dynamic_lds_size
    .group_segment_fixed_size: 0
    .kernarg_segment_align: 8
    .kernarg_segment_size: 1952
    .language:       OpenCL C
    .language_version:
      - 2
      - 0
    .max_flat_workgroup_size: 512
    .name:           _ZN2at4cuda17kernelHistogram1DIaalLi1ELi2ELin1ELNS0_23CUDAHistogramMemoryTypeE0EZNS0_21CUDA_tensor_histogramIaaLb0EEEbNS_6TensorES4_S4_lNS_14AccumulateTypeIT0_Lb1EE4typeES8_NS0_13TensorArgTypeES9_S9_EUllE_EEvNS0_6detail10TensorInfoIT_T1_EESF_NSC_IKS6_SE_EElS8_S8_SE_T6_
    .private_segment_fixed_size: 0
    .sgpr_count:     54
    .sgpr_spill_count: 0
    .symbol:         _ZN2at4cuda17kernelHistogram1DIaalLi1ELi2ELin1ELNS0_23CUDAHistogramMemoryTypeE0EZNS0_21CUDA_tensor_histogramIaaLb0EEEbNS_6TensorES4_S4_lNS_14AccumulateTypeIT0_Lb1EE4typeES8_NS0_13TensorArgTypeES9_S9_EUllE_EEvNS0_6detail10TensorInfoIT_T1_EESF_NSC_IKS6_SE_EElS8_S8_SE_T6_.kd
    .uniform_work_group_size: 1
    .uses_dynamic_stack: false
    .vgpr_count:     22
    .vgpr_spill_count: 0
    .wavefront_size: 64
  - .agpr_count:     0
    .args:
      - .offset:         0
        .size:           416
        .value_kind:     by_value
      - .offset:         416
        .size:           416
        .value_kind:     by_value
      - .offset:         832
        .size:           416
        .value_kind:     by_value
      - .offset:         1248
        .size:           8
        .value_kind:     by_value
      - .offset:         1256
        .size:           8
        .value_kind:     by_value
      - .offset:         1264
        .size:           8
        .value_kind:     by_value
      - .offset:         1272
        .size:           8
        .value_kind:     by_value
      - .offset:         1280
        .size:           416
        .value_kind:     by_value
      - .offset:         1696
        .size:           4
        .value_kind:     hidden_block_count_x
      - .offset:         1700
        .size:           4
        .value_kind:     hidden_block_count_y
      - .offset:         1704
        .size:           4
        .value_kind:     hidden_block_count_z
      - .offset:         1708
        .size:           2
        .value_kind:     hidden_group_size_x
      - .offset:         1710
        .size:           2
        .value_kind:     hidden_group_size_y
      - .offset:         1712
        .size:           2
        .value_kind:     hidden_group_size_z
      - .offset:         1714
        .size:           2
        .value_kind:     hidden_remainder_x
      - .offset:         1716
        .size:           2
        .value_kind:     hidden_remainder_y
      - .offset:         1718
        .size:           2
        .value_kind:     hidden_remainder_z
      - .offset:         1736
        .size:           8
        .value_kind:     hidden_global_offset_x
      - .offset:         1744
        .size:           8
        .value_kind:     hidden_global_offset_y
      - .offset:         1752
        .size:           8
        .value_kind:     hidden_global_offset_z
      - .offset:         1760
        .size:           2
        .value_kind:     hidden_grid_dims
    .group_segment_fixed_size: 0
    .kernarg_segment_align: 8
    .kernarg_segment_size: 1952
    .language:       OpenCL C
    .language_version:
      - 2
      - 0
    .max_flat_workgroup_size: 512
    .name:           _ZN2at4cuda17kernelHistogram1DIaalLi1ELi2ELin1ELNS0_23CUDAHistogramMemoryTypeE1EZNS0_21CUDA_tensor_histogramIaaLb0EEEbNS_6TensorES4_S4_lNS_14AccumulateTypeIT0_Lb1EE4typeES8_NS0_13TensorArgTypeES9_S9_EUllE_EEvNS0_6detail10TensorInfoIT_T1_EESF_NSC_IKS6_SE_EElS8_S8_SE_T6_
    .private_segment_fixed_size: 0
    .sgpr_count:     50
    .sgpr_spill_count: 0
    .symbol:         _ZN2at4cuda17kernelHistogram1DIaalLi1ELi2ELin1ELNS0_23CUDAHistogramMemoryTypeE1EZNS0_21CUDA_tensor_histogramIaaLb0EEEbNS_6TensorES4_S4_lNS_14AccumulateTypeIT0_Lb1EE4typeES8_NS0_13TensorArgTypeES9_S9_EUllE_EEvNS0_6detail10TensorInfoIT_T1_EESF_NSC_IKS6_SE_EElS8_S8_SE_T6_.kd
    .uniform_work_group_size: 1
    .uses_dynamic_stack: false
    .vgpr_count:     18
    .vgpr_spill_count: 0
    .wavefront_size: 64
  - .agpr_count:     0
    .args:
      - .offset:         0
        .size:           416
        .value_kind:     by_value
      - .offset:         416
        .size:           416
        .value_kind:     by_value
      - .offset:         832
        .size:           416
        .value_kind:     by_value
      - .offset:         1248
        .size:           8
        .value_kind:     by_value
      - .offset:         1256
        .size:           8
        .value_kind:     by_value
      - .offset:         1264
        .size:           8
        .value_kind:     by_value
      - .offset:         1272
        .size:           8
        .value_kind:     by_value
      - .offset:         1280
        .size:           1
        .value_kind:     by_value
      - .offset:         1288
        .size:           4
        .value_kind:     hidden_block_count_x
      - .offset:         1292
        .size:           4
        .value_kind:     hidden_block_count_y
      - .offset:         1296
        .size:           4
        .value_kind:     hidden_block_count_z
      - .offset:         1300
        .size:           2
        .value_kind:     hidden_group_size_x
      - .offset:         1302
        .size:           2
        .value_kind:     hidden_group_size_y
      - .offset:         1304
        .size:           2
        .value_kind:     hidden_group_size_z
      - .offset:         1306
        .size:           2
        .value_kind:     hidden_remainder_x
      - .offset:         1308
        .size:           2
        .value_kind:     hidden_remainder_y
      - .offset:         1310
        .size:           2
        .value_kind:     hidden_remainder_z
      - .offset:         1328
        .size:           8
        .value_kind:     hidden_global_offset_x
      - .offset:         1336
        .size:           8
        .value_kind:     hidden_global_offset_y
      - .offset:         1344
        .size:           8
        .value_kind:     hidden_global_offset_z
      - .offset:         1352
        .size:           2
        .value_kind:     hidden_grid_dims
      - .offset:         1408
        .size:           4
        .value_kind:     hidden_dynamic_lds_size
    .group_segment_fixed_size: 0
    .kernarg_segment_align: 8
    .kernarg_segment_size: 1544
    .language:       OpenCL C
    .language_version:
      - 2
      - 0
    .max_flat_workgroup_size: 512
    .name:           _ZN2at4cuda17kernelHistogram1DIaalLi1ELi2ELin1ELNS0_23CUDAHistogramMemoryTypeE0EZNS0_21CUDA_tensor_histogramIaaLb0EEEbNS_6TensorES4_S4_lNS_14AccumulateTypeIT0_Lb1EE4typeES8_NS0_13TensorArgTypeES9_S9_EUllE0_EEvNS0_6detail10TensorInfoIT_T1_EESF_NSC_IKS6_SE_EElS8_S8_SE_T6_
    .private_segment_fixed_size: 0
    .sgpr_count:     50
    .sgpr_spill_count: 0
    .symbol:         _ZN2at4cuda17kernelHistogram1DIaalLi1ELi2ELin1ELNS0_23CUDAHistogramMemoryTypeE0EZNS0_21CUDA_tensor_histogramIaaLb0EEEbNS_6TensorES4_S4_lNS_14AccumulateTypeIT0_Lb1EE4typeES8_NS0_13TensorArgTypeES9_S9_EUllE0_EEvNS0_6detail10TensorInfoIT_T1_EESF_NSC_IKS6_SE_EElS8_S8_SE_T6_.kd
    .uniform_work_group_size: 1
    .uses_dynamic_stack: false
    .vgpr_count:     22
    .vgpr_spill_count: 0
    .wavefront_size: 64
  - .agpr_count:     0
    .args:
      - .offset:         0
        .size:           416
        .value_kind:     by_value
      - .offset:         416
        .size:           416
        .value_kind:     by_value
      - .offset:         832
        .size:           416
        .value_kind:     by_value
      - .offset:         1248
        .size:           8
        .value_kind:     by_value
      - .offset:         1256
        .size:           8
        .value_kind:     by_value
      - .offset:         1264
        .size:           8
        .value_kind:     by_value
      - .offset:         1272
        .size:           8
        .value_kind:     by_value
      - .offset:         1280
        .size:           1
        .value_kind:     by_value
      - .offset:         1288
        .size:           4
        .value_kind:     hidden_block_count_x
      - .offset:         1292
        .size:           4
        .value_kind:     hidden_block_count_y
      - .offset:         1296
        .size:           4
        .value_kind:     hidden_block_count_z
      - .offset:         1300
        .size:           2
        .value_kind:     hidden_group_size_x
      - .offset:         1302
        .size:           2
        .value_kind:     hidden_group_size_y
      - .offset:         1304
        .size:           2
        .value_kind:     hidden_group_size_z
      - .offset:         1306
        .size:           2
        .value_kind:     hidden_remainder_x
      - .offset:         1308
        .size:           2
        .value_kind:     hidden_remainder_y
      - .offset:         1310
        .size:           2
        .value_kind:     hidden_remainder_z
      - .offset:         1328
        .size:           8
        .value_kind:     hidden_global_offset_x
      - .offset:         1336
        .size:           8
        .value_kind:     hidden_global_offset_y
      - .offset:         1344
        .size:           8
        .value_kind:     hidden_global_offset_z
      - .offset:         1352
        .size:           2
        .value_kind:     hidden_grid_dims
    .group_segment_fixed_size: 0
    .kernarg_segment_align: 8
    .kernarg_segment_size: 1544
    .language:       OpenCL C
    .language_version:
      - 2
      - 0
    .max_flat_workgroup_size: 512
    .name:           _ZN2at4cuda17kernelHistogram1DIaalLi1ELi2ELin1ELNS0_23CUDAHistogramMemoryTypeE1EZNS0_21CUDA_tensor_histogramIaaLb0EEEbNS_6TensorES4_S4_lNS_14AccumulateTypeIT0_Lb1EE4typeES8_NS0_13TensorArgTypeES9_S9_EUllE0_EEvNS0_6detail10TensorInfoIT_T1_EESF_NSC_IKS6_SE_EElS8_S8_SE_T6_
    .private_segment_fixed_size: 0
    .sgpr_count:     46
    .sgpr_spill_count: 0
    .symbol:         _ZN2at4cuda17kernelHistogram1DIaalLi1ELi2ELin1ELNS0_23CUDAHistogramMemoryTypeE1EZNS0_21CUDA_tensor_histogramIaaLb0EEEbNS_6TensorES4_S4_lNS_14AccumulateTypeIT0_Lb1EE4typeES8_NS0_13TensorArgTypeES9_S9_EUllE0_EEvNS0_6detail10TensorInfoIT_T1_EESF_NSC_IKS6_SE_EElS8_S8_SE_T6_.kd
    .uniform_work_group_size: 1
    .uses_dynamic_stack: false
    .vgpr_count:     18
    .vgpr_spill_count: 0
    .wavefront_size: 64
  - .agpr_count:     0
    .args:
      - .offset:         0
        .size:           416
        .value_kind:     by_value
      - .offset:         416
        .size:           416
        .value_kind:     by_value
      - .offset:         832
        .size:           416
        .value_kind:     by_value
      - .offset:         1248
        .size:           8
        .value_kind:     by_value
      - .offset:         1256
        .size:           8
        .value_kind:     by_value
      - .offset:         1264
        .size:           8
        .value_kind:     by_value
      - .offset:         1272
        .size:           8
        .value_kind:     by_value
      - .offset:         1280
        .size:           416
        .value_kind:     by_value
      - .offset:         1696
        .size:           4
        .value_kind:     hidden_block_count_x
      - .offset:         1700
        .size:           4
        .value_kind:     hidden_block_count_y
      - .offset:         1704
        .size:           4
        .value_kind:     hidden_block_count_z
      - .offset:         1708
        .size:           2
        .value_kind:     hidden_group_size_x
      - .offset:         1710
        .size:           2
        .value_kind:     hidden_group_size_y
      - .offset:         1712
        .size:           2
        .value_kind:     hidden_group_size_z
      - .offset:         1714
        .size:           2
        .value_kind:     hidden_remainder_x
      - .offset:         1716
        .size:           2
        .value_kind:     hidden_remainder_y
      - .offset:         1718
        .size:           2
        .value_kind:     hidden_remainder_z
      - .offset:         1736
        .size:           8
        .value_kind:     hidden_global_offset_x
      - .offset:         1744
        .size:           8
        .value_kind:     hidden_global_offset_y
      - .offset:         1752
        .size:           8
        .value_kind:     hidden_global_offset_z
      - .offset:         1760
        .size:           2
        .value_kind:     hidden_grid_dims
      - .offset:         1816
        .size:           4
        .value_kind:     hidden_dynamic_lds_size
    .group_segment_fixed_size: 0
    .kernarg_segment_align: 8
    .kernarg_segment_size: 1952
    .language:       OpenCL C
    .language_version:
      - 2
      - 0
    .max_flat_workgroup_size: 512
    .name:           _ZN2at4cuda17kernelHistogram1DIiilLi1ELi2ELin1ELNS0_23CUDAHistogramMemoryTypeE0EZNS0_21CUDA_tensor_histogramIiiLb0EEEbNS_6TensorES4_S4_lNS_14AccumulateTypeIT0_Lb1EE4typeES8_NS0_13TensorArgTypeES9_S9_EUllE_EEvNS0_6detail10TensorInfoIT_T1_EESF_NSC_IKS6_SE_EElS8_S8_SE_T6_
    .private_segment_fixed_size: 0
    .sgpr_count:     53
    .sgpr_spill_count: 0
    .symbol:         _ZN2at4cuda17kernelHistogram1DIiilLi1ELi2ELin1ELNS0_23CUDAHistogramMemoryTypeE0EZNS0_21CUDA_tensor_histogramIiiLb0EEEbNS_6TensorES4_S4_lNS_14AccumulateTypeIT0_Lb1EE4typeES8_NS0_13TensorArgTypeES9_S9_EUllE_EEvNS0_6detail10TensorInfoIT_T1_EESF_NSC_IKS6_SE_EElS8_S8_SE_T6_.kd
    .uniform_work_group_size: 1
    .uses_dynamic_stack: false
    .vgpr_count:     22
    .vgpr_spill_count: 0
    .wavefront_size: 64
  - .agpr_count:     0
    .args:
      - .offset:         0
        .size:           416
        .value_kind:     by_value
      - .offset:         416
        .size:           416
        .value_kind:     by_value
      - .offset:         832
        .size:           416
        .value_kind:     by_value
      - .offset:         1248
        .size:           8
        .value_kind:     by_value
      - .offset:         1256
        .size:           8
        .value_kind:     by_value
      - .offset:         1264
        .size:           8
        .value_kind:     by_value
      - .offset:         1272
        .size:           8
        .value_kind:     by_value
      - .offset:         1280
        .size:           416
        .value_kind:     by_value
      - .offset:         1696
        .size:           4
        .value_kind:     hidden_block_count_x
      - .offset:         1700
        .size:           4
        .value_kind:     hidden_block_count_y
      - .offset:         1704
        .size:           4
        .value_kind:     hidden_block_count_z
      - .offset:         1708
        .size:           2
        .value_kind:     hidden_group_size_x
      - .offset:         1710
        .size:           2
        .value_kind:     hidden_group_size_y
      - .offset:         1712
        .size:           2
        .value_kind:     hidden_group_size_z
      - .offset:         1714
        .size:           2
        .value_kind:     hidden_remainder_x
      - .offset:         1716
        .size:           2
        .value_kind:     hidden_remainder_y
      - .offset:         1718
        .size:           2
        .value_kind:     hidden_remainder_z
      - .offset:         1736
        .size:           8
        .value_kind:     hidden_global_offset_x
      - .offset:         1744
        .size:           8
        .value_kind:     hidden_global_offset_y
      - .offset:         1752
        .size:           8
        .value_kind:     hidden_global_offset_z
      - .offset:         1760
        .size:           2
        .value_kind:     hidden_grid_dims
    .group_segment_fixed_size: 0
    .kernarg_segment_align: 8
    .kernarg_segment_size: 1952
    .language:       OpenCL C
    .language_version:
      - 2
      - 0
    .max_flat_workgroup_size: 512
    .name:           _ZN2at4cuda17kernelHistogram1DIiilLi1ELi2ELin1ELNS0_23CUDAHistogramMemoryTypeE1EZNS0_21CUDA_tensor_histogramIiiLb0EEEbNS_6TensorES4_S4_lNS_14AccumulateTypeIT0_Lb1EE4typeES8_NS0_13TensorArgTypeES9_S9_EUllE_EEvNS0_6detail10TensorInfoIT_T1_EESF_NSC_IKS6_SE_EElS8_S8_SE_T6_
    .private_segment_fixed_size: 0
    .sgpr_count:     49
    .sgpr_spill_count: 0
    .symbol:         _ZN2at4cuda17kernelHistogram1DIiilLi1ELi2ELin1ELNS0_23CUDAHistogramMemoryTypeE1EZNS0_21CUDA_tensor_histogramIiiLb0EEEbNS_6TensorES4_S4_lNS_14AccumulateTypeIT0_Lb1EE4typeES8_NS0_13TensorArgTypeES9_S9_EUllE_EEvNS0_6detail10TensorInfoIT_T1_EESF_NSC_IKS6_SE_EElS8_S8_SE_T6_.kd
    .uniform_work_group_size: 1
    .uses_dynamic_stack: false
    .vgpr_count:     18
    .vgpr_spill_count: 0
    .wavefront_size: 64
  - .agpr_count:     0
    .args:
      - .offset:         0
        .size:           416
        .value_kind:     by_value
      - .offset:         416
        .size:           416
        .value_kind:     by_value
      - .offset:         832
        .size:           416
        .value_kind:     by_value
      - .offset:         1248
        .size:           8
        .value_kind:     by_value
      - .offset:         1256
        .size:           8
        .value_kind:     by_value
      - .offset:         1264
        .size:           8
        .value_kind:     by_value
      - .offset:         1272
        .size:           8
        .value_kind:     by_value
      - .offset:         1280
        .size:           1
        .value_kind:     by_value
      - .offset:         1288
        .size:           4
        .value_kind:     hidden_block_count_x
      - .offset:         1292
        .size:           4
        .value_kind:     hidden_block_count_y
      - .offset:         1296
        .size:           4
        .value_kind:     hidden_block_count_z
      - .offset:         1300
        .size:           2
        .value_kind:     hidden_group_size_x
      - .offset:         1302
        .size:           2
        .value_kind:     hidden_group_size_y
      - .offset:         1304
        .size:           2
        .value_kind:     hidden_group_size_z
      - .offset:         1306
        .size:           2
        .value_kind:     hidden_remainder_x
      - .offset:         1308
        .size:           2
        .value_kind:     hidden_remainder_y
      - .offset:         1310
        .size:           2
        .value_kind:     hidden_remainder_z
      - .offset:         1328
        .size:           8
        .value_kind:     hidden_global_offset_x
      - .offset:         1336
        .size:           8
        .value_kind:     hidden_global_offset_y
      - .offset:         1344
        .size:           8
        .value_kind:     hidden_global_offset_z
      - .offset:         1352
        .size:           2
        .value_kind:     hidden_grid_dims
      - .offset:         1408
        .size:           4
        .value_kind:     hidden_dynamic_lds_size
    .group_segment_fixed_size: 0
    .kernarg_segment_align: 8
    .kernarg_segment_size: 1544
    .language:       OpenCL C
    .language_version:
      - 2
      - 0
    .max_flat_workgroup_size: 512
    .name:           _ZN2at4cuda17kernelHistogram1DIiilLi1ELi2ELin1ELNS0_23CUDAHistogramMemoryTypeE0EZNS0_21CUDA_tensor_histogramIiiLb0EEEbNS_6TensorES4_S4_lNS_14AccumulateTypeIT0_Lb1EE4typeES8_NS0_13TensorArgTypeES9_S9_EUllE0_EEvNS0_6detail10TensorInfoIT_T1_EESF_NSC_IKS6_SE_EElS8_S8_SE_T6_
    .private_segment_fixed_size: 0
    .sgpr_count:     49
    .sgpr_spill_count: 0
    .symbol:         _ZN2at4cuda17kernelHistogram1DIiilLi1ELi2ELin1ELNS0_23CUDAHistogramMemoryTypeE0EZNS0_21CUDA_tensor_histogramIiiLb0EEEbNS_6TensorES4_S4_lNS_14AccumulateTypeIT0_Lb1EE4typeES8_NS0_13TensorArgTypeES9_S9_EUllE0_EEvNS0_6detail10TensorInfoIT_T1_EESF_NSC_IKS6_SE_EElS8_S8_SE_T6_.kd
    .uniform_work_group_size: 1
    .uses_dynamic_stack: false
    .vgpr_count:     23
    .vgpr_spill_count: 0
    .wavefront_size: 64
  - .agpr_count:     0
    .args:
      - .offset:         0
        .size:           416
        .value_kind:     by_value
      - .offset:         416
        .size:           416
        .value_kind:     by_value
      - .offset:         832
        .size:           416
        .value_kind:     by_value
      - .offset:         1248
        .size:           8
        .value_kind:     by_value
      - .offset:         1256
        .size:           8
        .value_kind:     by_value
      - .offset:         1264
        .size:           8
        .value_kind:     by_value
      - .offset:         1272
        .size:           8
        .value_kind:     by_value
      - .offset:         1280
        .size:           1
        .value_kind:     by_value
      - .offset:         1288
        .size:           4
        .value_kind:     hidden_block_count_x
      - .offset:         1292
        .size:           4
        .value_kind:     hidden_block_count_y
      - .offset:         1296
        .size:           4
        .value_kind:     hidden_block_count_z
      - .offset:         1300
        .size:           2
        .value_kind:     hidden_group_size_x
      - .offset:         1302
        .size:           2
        .value_kind:     hidden_group_size_y
      - .offset:         1304
        .size:           2
        .value_kind:     hidden_group_size_z
      - .offset:         1306
        .size:           2
        .value_kind:     hidden_remainder_x
      - .offset:         1308
        .size:           2
        .value_kind:     hidden_remainder_y
      - .offset:         1310
        .size:           2
        .value_kind:     hidden_remainder_z
      - .offset:         1328
        .size:           8
        .value_kind:     hidden_global_offset_x
      - .offset:         1336
        .size:           8
        .value_kind:     hidden_global_offset_y
      - .offset:         1344
        .size:           8
        .value_kind:     hidden_global_offset_z
      - .offset:         1352
        .size:           2
        .value_kind:     hidden_grid_dims
    .group_segment_fixed_size: 0
    .kernarg_segment_align: 8
    .kernarg_segment_size: 1544
    .language:       OpenCL C
    .language_version:
      - 2
      - 0
    .max_flat_workgroup_size: 512
    .name:           _ZN2at4cuda17kernelHistogram1DIiilLi1ELi2ELin1ELNS0_23CUDAHistogramMemoryTypeE1EZNS0_21CUDA_tensor_histogramIiiLb0EEEbNS_6TensorES4_S4_lNS_14AccumulateTypeIT0_Lb1EE4typeES8_NS0_13TensorArgTypeES9_S9_EUllE0_EEvNS0_6detail10TensorInfoIT_T1_EESF_NSC_IKS6_SE_EElS8_S8_SE_T6_
    .private_segment_fixed_size: 0
    .sgpr_count:     45
    .sgpr_spill_count: 0
    .symbol:         _ZN2at4cuda17kernelHistogram1DIiilLi1ELi2ELin1ELNS0_23CUDAHistogramMemoryTypeE1EZNS0_21CUDA_tensor_histogramIiiLb0EEEbNS_6TensorES4_S4_lNS_14AccumulateTypeIT0_Lb1EE4typeES8_NS0_13TensorArgTypeES9_S9_EUllE0_EEvNS0_6detail10TensorInfoIT_T1_EESF_NSC_IKS6_SE_EElS8_S8_SE_T6_.kd
    .uniform_work_group_size: 1
    .uses_dynamic_stack: false
    .vgpr_count:     19
    .vgpr_spill_count: 0
    .wavefront_size: 64
  - .agpr_count:     0
    .args:
      - .offset:         0
        .size:           416
        .value_kind:     by_value
      - .offset:         416
        .size:           416
        .value_kind:     by_value
      - .offset:         832
        .size:           416
        .value_kind:     by_value
      - .offset:         1248
        .size:           8
        .value_kind:     by_value
      - .offset:         1256
        .size:           8
        .value_kind:     by_value
      - .offset:         1264
        .size:           8
        .value_kind:     by_value
      - .offset:         1272
        .size:           8
        .value_kind:     by_value
      - .offset:         1280
        .size:           416
        .value_kind:     by_value
      - .offset:         1696
        .size:           4
        .value_kind:     hidden_block_count_x
      - .offset:         1700
        .size:           4
        .value_kind:     hidden_block_count_y
      - .offset:         1704
        .size:           4
        .value_kind:     hidden_block_count_z
      - .offset:         1708
        .size:           2
        .value_kind:     hidden_group_size_x
      - .offset:         1710
        .size:           2
        .value_kind:     hidden_group_size_y
      - .offset:         1712
        .size:           2
        .value_kind:     hidden_group_size_z
      - .offset:         1714
        .size:           2
        .value_kind:     hidden_remainder_x
      - .offset:         1716
        .size:           2
        .value_kind:     hidden_remainder_y
      - .offset:         1718
        .size:           2
        .value_kind:     hidden_remainder_z
      - .offset:         1736
        .size:           8
        .value_kind:     hidden_global_offset_x
      - .offset:         1744
        .size:           8
        .value_kind:     hidden_global_offset_y
      - .offset:         1752
        .size:           8
        .value_kind:     hidden_global_offset_z
      - .offset:         1760
        .size:           2
        .value_kind:     hidden_grid_dims
      - .offset:         1816
        .size:           4
        .value_kind:     hidden_dynamic_lds_size
    .group_segment_fixed_size: 0
    .kernarg_segment_align: 8
    .kernarg_segment_size: 1952
    .language:       OpenCL C
    .language_version:
      - 2
      - 0
    .max_flat_workgroup_size: 512
    .name:           _ZN2at4cuda17kernelHistogram1DIsslLi1ELi2ELin1ELNS0_23CUDAHistogramMemoryTypeE0EZNS0_21CUDA_tensor_histogramIssLb0EEEbNS_6TensorES4_S4_lNS_14AccumulateTypeIT0_Lb1EE4typeES8_NS0_13TensorArgTypeES9_S9_EUllE_EEvNS0_6detail10TensorInfoIT_T1_EESF_NSC_IKS6_SE_EElS8_S8_SE_T6_
    .private_segment_fixed_size: 0
    .sgpr_count:     54
    .sgpr_spill_count: 0
    .symbol:         _ZN2at4cuda17kernelHistogram1DIsslLi1ELi2ELin1ELNS0_23CUDAHistogramMemoryTypeE0EZNS0_21CUDA_tensor_histogramIssLb0EEEbNS_6TensorES4_S4_lNS_14AccumulateTypeIT0_Lb1EE4typeES8_NS0_13TensorArgTypeES9_S9_EUllE_EEvNS0_6detail10TensorInfoIT_T1_EESF_NSC_IKS6_SE_EElS8_S8_SE_T6_.kd
    .uniform_work_group_size: 1
    .uses_dynamic_stack: false
    .vgpr_count:     22
    .vgpr_spill_count: 0
    .wavefront_size: 64
  - .agpr_count:     0
    .args:
      - .offset:         0
        .size:           416
        .value_kind:     by_value
      - .offset:         416
        .size:           416
        .value_kind:     by_value
      - .offset:         832
        .size:           416
        .value_kind:     by_value
      - .offset:         1248
        .size:           8
        .value_kind:     by_value
      - .offset:         1256
        .size:           8
        .value_kind:     by_value
      - .offset:         1264
        .size:           8
        .value_kind:     by_value
      - .offset:         1272
        .size:           8
        .value_kind:     by_value
      - .offset:         1280
        .size:           416
        .value_kind:     by_value
      - .offset:         1696
        .size:           4
        .value_kind:     hidden_block_count_x
      - .offset:         1700
        .size:           4
        .value_kind:     hidden_block_count_y
      - .offset:         1704
        .size:           4
        .value_kind:     hidden_block_count_z
      - .offset:         1708
        .size:           2
        .value_kind:     hidden_group_size_x
      - .offset:         1710
        .size:           2
        .value_kind:     hidden_group_size_y
      - .offset:         1712
        .size:           2
        .value_kind:     hidden_group_size_z
      - .offset:         1714
        .size:           2
        .value_kind:     hidden_remainder_x
      - .offset:         1716
        .size:           2
        .value_kind:     hidden_remainder_y
      - .offset:         1718
        .size:           2
        .value_kind:     hidden_remainder_z
      - .offset:         1736
        .size:           8
        .value_kind:     hidden_global_offset_x
      - .offset:         1744
        .size:           8
        .value_kind:     hidden_global_offset_y
      - .offset:         1752
        .size:           8
        .value_kind:     hidden_global_offset_z
      - .offset:         1760
        .size:           2
        .value_kind:     hidden_grid_dims
    .group_segment_fixed_size: 0
    .kernarg_segment_align: 8
    .kernarg_segment_size: 1952
    .language:       OpenCL C
    .language_version:
      - 2
      - 0
    .max_flat_workgroup_size: 512
    .name:           _ZN2at4cuda17kernelHistogram1DIsslLi1ELi2ELin1ELNS0_23CUDAHistogramMemoryTypeE1EZNS0_21CUDA_tensor_histogramIssLb0EEEbNS_6TensorES4_S4_lNS_14AccumulateTypeIT0_Lb1EE4typeES8_NS0_13TensorArgTypeES9_S9_EUllE_EEvNS0_6detail10TensorInfoIT_T1_EESF_NSC_IKS6_SE_EElS8_S8_SE_T6_
    .private_segment_fixed_size: 0
    .sgpr_count:     50
    .sgpr_spill_count: 0
    .symbol:         _ZN2at4cuda17kernelHistogram1DIsslLi1ELi2ELin1ELNS0_23CUDAHistogramMemoryTypeE1EZNS0_21CUDA_tensor_histogramIssLb0EEEbNS_6TensorES4_S4_lNS_14AccumulateTypeIT0_Lb1EE4typeES8_NS0_13TensorArgTypeES9_S9_EUllE_EEvNS0_6detail10TensorInfoIT_T1_EESF_NSC_IKS6_SE_EElS8_S8_SE_T6_.kd
    .uniform_work_group_size: 1
    .uses_dynamic_stack: false
    .vgpr_count:     18
    .vgpr_spill_count: 0
    .wavefront_size: 64
  - .agpr_count:     0
    .args:
      - .offset:         0
        .size:           416
        .value_kind:     by_value
      - .offset:         416
        .size:           416
        .value_kind:     by_value
      - .offset:         832
        .size:           416
        .value_kind:     by_value
      - .offset:         1248
        .size:           8
        .value_kind:     by_value
      - .offset:         1256
        .size:           8
        .value_kind:     by_value
      - .offset:         1264
        .size:           8
        .value_kind:     by_value
      - .offset:         1272
        .size:           8
        .value_kind:     by_value
      - .offset:         1280
        .size:           1
        .value_kind:     by_value
      - .offset:         1288
        .size:           4
        .value_kind:     hidden_block_count_x
      - .offset:         1292
        .size:           4
        .value_kind:     hidden_block_count_y
      - .offset:         1296
        .size:           4
        .value_kind:     hidden_block_count_z
      - .offset:         1300
        .size:           2
        .value_kind:     hidden_group_size_x
      - .offset:         1302
        .size:           2
        .value_kind:     hidden_group_size_y
      - .offset:         1304
        .size:           2
        .value_kind:     hidden_group_size_z
      - .offset:         1306
        .size:           2
        .value_kind:     hidden_remainder_x
      - .offset:         1308
        .size:           2
        .value_kind:     hidden_remainder_y
      - .offset:         1310
        .size:           2
        .value_kind:     hidden_remainder_z
      - .offset:         1328
        .size:           8
        .value_kind:     hidden_global_offset_x
      - .offset:         1336
        .size:           8
        .value_kind:     hidden_global_offset_y
      - .offset:         1344
        .size:           8
        .value_kind:     hidden_global_offset_z
      - .offset:         1352
        .size:           2
        .value_kind:     hidden_grid_dims
      - .offset:         1408
        .size:           4
        .value_kind:     hidden_dynamic_lds_size
    .group_segment_fixed_size: 0
    .kernarg_segment_align: 8
    .kernarg_segment_size: 1544
    .language:       OpenCL C
    .language_version:
      - 2
      - 0
    .max_flat_workgroup_size: 512
    .name:           _ZN2at4cuda17kernelHistogram1DIsslLi1ELi2ELin1ELNS0_23CUDAHistogramMemoryTypeE0EZNS0_21CUDA_tensor_histogramIssLb0EEEbNS_6TensorES4_S4_lNS_14AccumulateTypeIT0_Lb1EE4typeES8_NS0_13TensorArgTypeES9_S9_EUllE0_EEvNS0_6detail10TensorInfoIT_T1_EESF_NSC_IKS6_SE_EElS8_S8_SE_T6_
    .private_segment_fixed_size: 0
    .sgpr_count:     50
    .sgpr_spill_count: 0
    .symbol:         _ZN2at4cuda17kernelHistogram1DIsslLi1ELi2ELin1ELNS0_23CUDAHistogramMemoryTypeE0EZNS0_21CUDA_tensor_histogramIssLb0EEEbNS_6TensorES4_S4_lNS_14AccumulateTypeIT0_Lb1EE4typeES8_NS0_13TensorArgTypeES9_S9_EUllE0_EEvNS0_6detail10TensorInfoIT_T1_EESF_NSC_IKS6_SE_EElS8_S8_SE_T6_.kd
    .uniform_work_group_size: 1
    .uses_dynamic_stack: false
    .vgpr_count:     22
    .vgpr_spill_count: 0
    .wavefront_size: 64
  - .agpr_count:     0
    .args:
      - .offset:         0
        .size:           416
        .value_kind:     by_value
      - .offset:         416
        .size:           416
        .value_kind:     by_value
      - .offset:         832
        .size:           416
        .value_kind:     by_value
      - .offset:         1248
        .size:           8
        .value_kind:     by_value
      - .offset:         1256
        .size:           8
        .value_kind:     by_value
      - .offset:         1264
        .size:           8
        .value_kind:     by_value
      - .offset:         1272
        .size:           8
        .value_kind:     by_value
      - .offset:         1280
        .size:           1
        .value_kind:     by_value
      - .offset:         1288
        .size:           4
        .value_kind:     hidden_block_count_x
      - .offset:         1292
        .size:           4
        .value_kind:     hidden_block_count_y
      - .offset:         1296
        .size:           4
        .value_kind:     hidden_block_count_z
      - .offset:         1300
        .size:           2
        .value_kind:     hidden_group_size_x
      - .offset:         1302
        .size:           2
        .value_kind:     hidden_group_size_y
      - .offset:         1304
        .size:           2
        .value_kind:     hidden_group_size_z
      - .offset:         1306
        .size:           2
        .value_kind:     hidden_remainder_x
      - .offset:         1308
        .size:           2
        .value_kind:     hidden_remainder_y
      - .offset:         1310
        .size:           2
        .value_kind:     hidden_remainder_z
      - .offset:         1328
        .size:           8
        .value_kind:     hidden_global_offset_x
      - .offset:         1336
        .size:           8
        .value_kind:     hidden_global_offset_y
      - .offset:         1344
        .size:           8
        .value_kind:     hidden_global_offset_z
      - .offset:         1352
        .size:           2
        .value_kind:     hidden_grid_dims
    .group_segment_fixed_size: 0
    .kernarg_segment_align: 8
    .kernarg_segment_size: 1544
    .language:       OpenCL C
    .language_version:
      - 2
      - 0
    .max_flat_workgroup_size: 512
    .name:           _ZN2at4cuda17kernelHistogram1DIsslLi1ELi2ELin1ELNS0_23CUDAHistogramMemoryTypeE1EZNS0_21CUDA_tensor_histogramIssLb0EEEbNS_6TensorES4_S4_lNS_14AccumulateTypeIT0_Lb1EE4typeES8_NS0_13TensorArgTypeES9_S9_EUllE0_EEvNS0_6detail10TensorInfoIT_T1_EESF_NSC_IKS6_SE_EElS8_S8_SE_T6_
    .private_segment_fixed_size: 0
    .sgpr_count:     46
    .sgpr_spill_count: 0
    .symbol:         _ZN2at4cuda17kernelHistogram1DIsslLi1ELi2ELin1ELNS0_23CUDAHistogramMemoryTypeE1EZNS0_21CUDA_tensor_histogramIssLb0EEEbNS_6TensorES4_S4_lNS_14AccumulateTypeIT0_Lb1EE4typeES8_NS0_13TensorArgTypeES9_S9_EUllE0_EEvNS0_6detail10TensorInfoIT_T1_EESF_NSC_IKS6_SE_EElS8_S8_SE_T6_.kd
    .uniform_work_group_size: 1
    .uses_dynamic_stack: false
    .vgpr_count:     18
    .vgpr_spill_count: 0
    .wavefront_size: 64
  - .agpr_count:     0
    .args:
      - .offset:         0
        .size:           416
        .value_kind:     by_value
      - .offset:         416
        .size:           416
        .value_kind:     by_value
      - .offset:         832
        .size:           416
        .value_kind:     by_value
      - .offset:         1248
        .size:           8
        .value_kind:     by_value
      - .offset:         1256
        .size:           8
        .value_kind:     by_value
      - .offset:         1264
        .size:           8
        .value_kind:     by_value
      - .offset:         1272
        .size:           8
        .value_kind:     by_value
      - .offset:         1280
        .size:           416
        .value_kind:     by_value
      - .offset:         1696
        .size:           4
        .value_kind:     hidden_block_count_x
      - .offset:         1700
        .size:           4
        .value_kind:     hidden_block_count_y
      - .offset:         1704
        .size:           4
        .value_kind:     hidden_block_count_z
      - .offset:         1708
        .size:           2
        .value_kind:     hidden_group_size_x
      - .offset:         1710
        .size:           2
        .value_kind:     hidden_group_size_y
      - .offset:         1712
        .size:           2
        .value_kind:     hidden_group_size_z
      - .offset:         1714
        .size:           2
        .value_kind:     hidden_remainder_x
      - .offset:         1716
        .size:           2
        .value_kind:     hidden_remainder_y
      - .offset:         1718
        .size:           2
        .value_kind:     hidden_remainder_z
      - .offset:         1736
        .size:           8
        .value_kind:     hidden_global_offset_x
      - .offset:         1744
        .size:           8
        .value_kind:     hidden_global_offset_y
      - .offset:         1752
        .size:           8
        .value_kind:     hidden_global_offset_z
      - .offset:         1760
        .size:           2
        .value_kind:     hidden_grid_dims
      - .offset:         1816
        .size:           4
        .value_kind:     hidden_dynamic_lds_size
    .group_segment_fixed_size: 0
    .kernarg_segment_align: 8
    .kernarg_segment_size: 1952
    .language:       OpenCL C
    .language_version:
      - 2
      - 0
    .max_flat_workgroup_size: 512
    .name:           _ZN2at4cuda17kernelHistogram1DIddlLi1ELi2ELin1ELNS0_23CUDAHistogramMemoryTypeE0EZNS0_21CUDA_tensor_histogramIddLb0EEEbNS_6TensorES4_S4_lNS_14AccumulateTypeIT0_Lb1EE4typeES8_NS0_13TensorArgTypeES9_S9_EUllE_EEvNS0_6detail10TensorInfoIT_T1_EESF_NSC_IKS6_SE_EElS8_S8_SE_T6_
    .private_segment_fixed_size: 0
    .sgpr_count:     52
    .sgpr_spill_count: 0
    .symbol:         _ZN2at4cuda17kernelHistogram1DIddlLi1ELi2ELin1ELNS0_23CUDAHistogramMemoryTypeE0EZNS0_21CUDA_tensor_histogramIddLb0EEEbNS_6TensorES4_S4_lNS_14AccumulateTypeIT0_Lb1EE4typeES8_NS0_13TensorArgTypeES9_S9_EUllE_EEvNS0_6detail10TensorInfoIT_T1_EESF_NSC_IKS6_SE_EElS8_S8_SE_T6_.kd
    .uniform_work_group_size: 1
    .uses_dynamic_stack: false
    .vgpr_count:     28
    .vgpr_spill_count: 0
    .wavefront_size: 64
  - .agpr_count:     0
    .args:
      - .offset:         0
        .size:           416
        .value_kind:     by_value
      - .offset:         416
        .size:           416
        .value_kind:     by_value
      - .offset:         832
        .size:           416
        .value_kind:     by_value
      - .offset:         1248
        .size:           8
        .value_kind:     by_value
      - .offset:         1256
        .size:           8
        .value_kind:     by_value
      - .offset:         1264
        .size:           8
        .value_kind:     by_value
      - .offset:         1272
        .size:           8
        .value_kind:     by_value
      - .offset:         1280
        .size:           416
        .value_kind:     by_value
      - .offset:         1696
        .size:           4
        .value_kind:     hidden_block_count_x
      - .offset:         1700
        .size:           4
        .value_kind:     hidden_block_count_y
      - .offset:         1704
        .size:           4
        .value_kind:     hidden_block_count_z
      - .offset:         1708
        .size:           2
        .value_kind:     hidden_group_size_x
      - .offset:         1710
        .size:           2
        .value_kind:     hidden_group_size_y
      - .offset:         1712
        .size:           2
        .value_kind:     hidden_group_size_z
      - .offset:         1714
        .size:           2
        .value_kind:     hidden_remainder_x
      - .offset:         1716
        .size:           2
        .value_kind:     hidden_remainder_y
      - .offset:         1718
        .size:           2
        .value_kind:     hidden_remainder_z
      - .offset:         1736
        .size:           8
        .value_kind:     hidden_global_offset_x
      - .offset:         1744
        .size:           8
        .value_kind:     hidden_global_offset_y
      - .offset:         1752
        .size:           8
        .value_kind:     hidden_global_offset_z
      - .offset:         1760
        .size:           2
        .value_kind:     hidden_grid_dims
    .group_segment_fixed_size: 0
    .kernarg_segment_align: 8
    .kernarg_segment_size: 1952
    .language:       OpenCL C
    .language_version:
      - 2
      - 0
    .max_flat_workgroup_size: 512
    .name:           _ZN2at4cuda17kernelHistogram1DIddlLi1ELi2ELin1ELNS0_23CUDAHistogramMemoryTypeE1EZNS0_21CUDA_tensor_histogramIddLb0EEEbNS_6TensorES4_S4_lNS_14AccumulateTypeIT0_Lb1EE4typeES8_NS0_13TensorArgTypeES9_S9_EUllE_EEvNS0_6detail10TensorInfoIT_T1_EESF_NSC_IKS6_SE_EElS8_S8_SE_T6_
    .private_segment_fixed_size: 0
    .sgpr_count:     47
    .sgpr_spill_count: 0
    .symbol:         _ZN2at4cuda17kernelHistogram1DIddlLi1ELi2ELin1ELNS0_23CUDAHistogramMemoryTypeE1EZNS0_21CUDA_tensor_histogramIddLb0EEEbNS_6TensorES4_S4_lNS_14AccumulateTypeIT0_Lb1EE4typeES8_NS0_13TensorArgTypeES9_S9_EUllE_EEvNS0_6detail10TensorInfoIT_T1_EESF_NSC_IKS6_SE_EElS8_S8_SE_T6_.kd
    .uniform_work_group_size: 1
    .uses_dynamic_stack: false
    .vgpr_count:     22
    .vgpr_spill_count: 0
    .wavefront_size: 64
  - .agpr_count:     0
    .args:
      - .offset:         0
        .size:           416
        .value_kind:     by_value
      - .offset:         416
        .size:           416
        .value_kind:     by_value
      - .offset:         832
        .size:           416
        .value_kind:     by_value
      - .offset:         1248
        .size:           8
        .value_kind:     by_value
      - .offset:         1256
        .size:           8
        .value_kind:     by_value
      - .offset:         1264
        .size:           8
        .value_kind:     by_value
      - .offset:         1272
        .size:           8
        .value_kind:     by_value
      - .offset:         1280
        .size:           1
        .value_kind:     by_value
      - .offset:         1288
        .size:           4
        .value_kind:     hidden_block_count_x
      - .offset:         1292
        .size:           4
        .value_kind:     hidden_block_count_y
      - .offset:         1296
        .size:           4
        .value_kind:     hidden_block_count_z
      - .offset:         1300
        .size:           2
        .value_kind:     hidden_group_size_x
      - .offset:         1302
        .size:           2
        .value_kind:     hidden_group_size_y
      - .offset:         1304
        .size:           2
        .value_kind:     hidden_group_size_z
      - .offset:         1306
        .size:           2
        .value_kind:     hidden_remainder_x
      - .offset:         1308
        .size:           2
        .value_kind:     hidden_remainder_y
      - .offset:         1310
        .size:           2
        .value_kind:     hidden_remainder_z
      - .offset:         1328
        .size:           8
        .value_kind:     hidden_global_offset_x
      - .offset:         1336
        .size:           8
        .value_kind:     hidden_global_offset_y
      - .offset:         1344
        .size:           8
        .value_kind:     hidden_global_offset_z
      - .offset:         1352
        .size:           2
        .value_kind:     hidden_grid_dims
      - .offset:         1408
        .size:           4
        .value_kind:     hidden_dynamic_lds_size
    .group_segment_fixed_size: 0
    .kernarg_segment_align: 8
    .kernarg_segment_size: 1544
    .language:       OpenCL C
    .language_version:
      - 2
      - 0
    .max_flat_workgroup_size: 512
    .name:           _ZN2at4cuda17kernelHistogram1DIddlLi1ELi2ELin1ELNS0_23CUDAHistogramMemoryTypeE0EZNS0_21CUDA_tensor_histogramIddLb0EEEbNS_6TensorES4_S4_lNS_14AccumulateTypeIT0_Lb1EE4typeES8_NS0_13TensorArgTypeES9_S9_EUllE0_EEvNS0_6detail10TensorInfoIT_T1_EESF_NSC_IKS6_SE_EElS8_S8_SE_T6_
    .private_segment_fixed_size: 0
    .sgpr_count:     48
    .sgpr_spill_count: 0
    .symbol:         _ZN2at4cuda17kernelHistogram1DIddlLi1ELi2ELin1ELNS0_23CUDAHistogramMemoryTypeE0EZNS0_21CUDA_tensor_histogramIddLb0EEEbNS_6TensorES4_S4_lNS_14AccumulateTypeIT0_Lb1EE4typeES8_NS0_13TensorArgTypeES9_S9_EUllE0_EEvNS0_6detail10TensorInfoIT_T1_EESF_NSC_IKS6_SE_EElS8_S8_SE_T6_.kd
    .uniform_work_group_size: 1
    .uses_dynamic_stack: false
    .vgpr_count:     28
    .vgpr_spill_count: 0
    .wavefront_size: 64
  - .agpr_count:     0
    .args:
      - .offset:         0
        .size:           416
        .value_kind:     by_value
      - .offset:         416
        .size:           416
        .value_kind:     by_value
      - .offset:         832
        .size:           416
        .value_kind:     by_value
      - .offset:         1248
        .size:           8
        .value_kind:     by_value
      - .offset:         1256
        .size:           8
        .value_kind:     by_value
      - .offset:         1264
        .size:           8
        .value_kind:     by_value
      - .offset:         1272
        .size:           8
        .value_kind:     by_value
      - .offset:         1280
        .size:           1
        .value_kind:     by_value
      - .offset:         1288
        .size:           4
        .value_kind:     hidden_block_count_x
      - .offset:         1292
        .size:           4
        .value_kind:     hidden_block_count_y
      - .offset:         1296
        .size:           4
        .value_kind:     hidden_block_count_z
      - .offset:         1300
        .size:           2
        .value_kind:     hidden_group_size_x
      - .offset:         1302
        .size:           2
        .value_kind:     hidden_group_size_y
      - .offset:         1304
        .size:           2
        .value_kind:     hidden_group_size_z
      - .offset:         1306
        .size:           2
        .value_kind:     hidden_remainder_x
      - .offset:         1308
        .size:           2
        .value_kind:     hidden_remainder_y
      - .offset:         1310
        .size:           2
        .value_kind:     hidden_remainder_z
      - .offset:         1328
        .size:           8
        .value_kind:     hidden_global_offset_x
      - .offset:         1336
        .size:           8
        .value_kind:     hidden_global_offset_y
      - .offset:         1344
        .size:           8
        .value_kind:     hidden_global_offset_z
      - .offset:         1352
        .size:           2
        .value_kind:     hidden_grid_dims
    .group_segment_fixed_size: 0
    .kernarg_segment_align: 8
    .kernarg_segment_size: 1544
    .language:       OpenCL C
    .language_version:
      - 2
      - 0
    .max_flat_workgroup_size: 512
    .name:           _ZN2at4cuda17kernelHistogram1DIddlLi1ELi2ELin1ELNS0_23CUDAHistogramMemoryTypeE1EZNS0_21CUDA_tensor_histogramIddLb0EEEbNS_6TensorES4_S4_lNS_14AccumulateTypeIT0_Lb1EE4typeES8_NS0_13TensorArgTypeES9_S9_EUllE0_EEvNS0_6detail10TensorInfoIT_T1_EESF_NSC_IKS6_SE_EElS8_S8_SE_T6_
    .private_segment_fixed_size: 0
    .sgpr_count:     43
    .sgpr_spill_count: 0
    .symbol:         _ZN2at4cuda17kernelHistogram1DIddlLi1ELi2ELin1ELNS0_23CUDAHistogramMemoryTypeE1EZNS0_21CUDA_tensor_histogramIddLb0EEEbNS_6TensorES4_S4_lNS_14AccumulateTypeIT0_Lb1EE4typeES8_NS0_13TensorArgTypeES9_S9_EUllE0_EEvNS0_6detail10TensorInfoIT_T1_EESF_NSC_IKS6_SE_EElS8_S8_SE_T6_.kd
    .uniform_work_group_size: 1
    .uses_dynamic_stack: false
    .vgpr_count:     22
    .vgpr_spill_count: 0
    .wavefront_size: 64
  - .agpr_count:     0
    .args:
      - .offset:         0
        .size:           416
        .value_kind:     by_value
      - .offset:         416
        .size:           416
        .value_kind:     by_value
      - .offset:         832
        .size:           416
        .value_kind:     by_value
      - .offset:         1248
        .size:           8
        .value_kind:     by_value
      - .offset:         1256
        .size:           4
        .value_kind:     by_value
      - .offset:         1260
        .size:           4
        .value_kind:     by_value
      - .offset:         1264
        .size:           8
        .value_kind:     by_value
      - .offset:         1272
        .size:           416
        .value_kind:     by_value
      - .offset:         1688
        .size:           4
        .value_kind:     hidden_block_count_x
      - .offset:         1692
        .size:           4
        .value_kind:     hidden_block_count_y
      - .offset:         1696
        .size:           4
        .value_kind:     hidden_block_count_z
      - .offset:         1700
        .size:           2
        .value_kind:     hidden_group_size_x
      - .offset:         1702
        .size:           2
        .value_kind:     hidden_group_size_y
      - .offset:         1704
        .size:           2
        .value_kind:     hidden_group_size_z
      - .offset:         1706
        .size:           2
        .value_kind:     hidden_remainder_x
      - .offset:         1708
        .size:           2
        .value_kind:     hidden_remainder_y
      - .offset:         1710
        .size:           2
        .value_kind:     hidden_remainder_z
      - .offset:         1728
        .size:           8
        .value_kind:     hidden_global_offset_x
      - .offset:         1736
        .size:           8
        .value_kind:     hidden_global_offset_y
      - .offset:         1744
        .size:           8
        .value_kind:     hidden_global_offset_z
      - .offset:         1752
        .size:           2
        .value_kind:     hidden_grid_dims
      - .offset:         1808
        .size:           4
        .value_kind:     hidden_dynamic_lds_size
    .group_segment_fixed_size: 0
    .kernarg_segment_align: 8
    .kernarg_segment_size: 1944
    .language:       OpenCL C
    .language_version:
      - 2
      - 0
    .max_flat_workgroup_size: 512
    .name:           _ZN2at4cuda17kernelHistogram1DIfflLi1ELi2ELin1ELNS0_23CUDAHistogramMemoryTypeE0EZNS0_21CUDA_tensor_histogramIffLb0EEEbNS_6TensorES4_S4_lNS_14AccumulateTypeIT0_Lb1EE4typeES8_NS0_13TensorArgTypeES9_S9_EUllE_EEvNS0_6detail10TensorInfoIT_T1_EESF_NSC_IKS6_SE_EElS8_S8_SE_T6_
    .private_segment_fixed_size: 0
    .sgpr_count:     49
    .sgpr_spill_count: 0
    .symbol:         _ZN2at4cuda17kernelHistogram1DIfflLi1ELi2ELin1ELNS0_23CUDAHistogramMemoryTypeE0EZNS0_21CUDA_tensor_histogramIffLb0EEEbNS_6TensorES4_S4_lNS_14AccumulateTypeIT0_Lb1EE4typeES8_NS0_13TensorArgTypeES9_S9_EUllE_EEvNS0_6detail10TensorInfoIT_T1_EESF_NSC_IKS6_SE_EElS8_S8_SE_T6_.kd
    .uniform_work_group_size: 1
    .uses_dynamic_stack: false
    .vgpr_count:     24
    .vgpr_spill_count: 0
    .wavefront_size: 64
  - .agpr_count:     0
    .args:
      - .offset:         0
        .size:           416
        .value_kind:     by_value
      - .offset:         416
        .size:           416
        .value_kind:     by_value
      - .offset:         832
        .size:           416
        .value_kind:     by_value
      - .offset:         1248
        .size:           8
        .value_kind:     by_value
      - .offset:         1256
        .size:           4
        .value_kind:     by_value
      - .offset:         1260
        .size:           4
        .value_kind:     by_value
      - .offset:         1264
        .size:           8
        .value_kind:     by_value
      - .offset:         1272
        .size:           416
        .value_kind:     by_value
      - .offset:         1688
        .size:           4
        .value_kind:     hidden_block_count_x
      - .offset:         1692
        .size:           4
        .value_kind:     hidden_block_count_y
      - .offset:         1696
        .size:           4
        .value_kind:     hidden_block_count_z
      - .offset:         1700
        .size:           2
        .value_kind:     hidden_group_size_x
      - .offset:         1702
        .size:           2
        .value_kind:     hidden_group_size_y
      - .offset:         1704
        .size:           2
        .value_kind:     hidden_group_size_z
      - .offset:         1706
        .size:           2
        .value_kind:     hidden_remainder_x
      - .offset:         1708
        .size:           2
        .value_kind:     hidden_remainder_y
      - .offset:         1710
        .size:           2
        .value_kind:     hidden_remainder_z
      - .offset:         1728
        .size:           8
        .value_kind:     hidden_global_offset_x
      - .offset:         1736
        .size:           8
        .value_kind:     hidden_global_offset_y
      - .offset:         1744
        .size:           8
        .value_kind:     hidden_global_offset_z
      - .offset:         1752
        .size:           2
        .value_kind:     hidden_grid_dims
    .group_segment_fixed_size: 0
    .kernarg_segment_align: 8
    .kernarg_segment_size: 1944
    .language:       OpenCL C
    .language_version:
      - 2
      - 0
    .max_flat_workgroup_size: 512
    .name:           _ZN2at4cuda17kernelHistogram1DIfflLi1ELi2ELin1ELNS0_23CUDAHistogramMemoryTypeE1EZNS0_21CUDA_tensor_histogramIffLb0EEEbNS_6TensorES4_S4_lNS_14AccumulateTypeIT0_Lb1EE4typeES8_NS0_13TensorArgTypeES9_S9_EUllE_EEvNS0_6detail10TensorInfoIT_T1_EESF_NSC_IKS6_SE_EElS8_S8_SE_T6_
    .private_segment_fixed_size: 0
    .sgpr_count:     45
    .sgpr_spill_count: 0
    .symbol:         _ZN2at4cuda17kernelHistogram1DIfflLi1ELi2ELin1ELNS0_23CUDAHistogramMemoryTypeE1EZNS0_21CUDA_tensor_histogramIffLb0EEEbNS_6TensorES4_S4_lNS_14AccumulateTypeIT0_Lb1EE4typeES8_NS0_13TensorArgTypeES9_S9_EUllE_EEvNS0_6detail10TensorInfoIT_T1_EESF_NSC_IKS6_SE_EElS8_S8_SE_T6_.kd
    .uniform_work_group_size: 1
    .uses_dynamic_stack: false
    .vgpr_count:     20
    .vgpr_spill_count: 0
    .wavefront_size: 64
  - .agpr_count:     0
    .args:
      - .offset:         0
        .size:           416
        .value_kind:     by_value
      - .offset:         416
        .size:           416
        .value_kind:     by_value
      - .offset:         832
        .size:           416
        .value_kind:     by_value
      - .offset:         1248
        .size:           8
        .value_kind:     by_value
      - .offset:         1256
        .size:           4
        .value_kind:     by_value
      - .offset:         1260
        .size:           4
        .value_kind:     by_value
      - .offset:         1264
        .size:           8
        .value_kind:     by_value
      - .offset:         1272
        .size:           1
        .value_kind:     by_value
      - .offset:         1280
        .size:           4
        .value_kind:     hidden_block_count_x
      - .offset:         1284
        .size:           4
        .value_kind:     hidden_block_count_y
      - .offset:         1288
        .size:           4
        .value_kind:     hidden_block_count_z
      - .offset:         1292
        .size:           2
        .value_kind:     hidden_group_size_x
      - .offset:         1294
        .size:           2
        .value_kind:     hidden_group_size_y
      - .offset:         1296
        .size:           2
        .value_kind:     hidden_group_size_z
      - .offset:         1298
        .size:           2
        .value_kind:     hidden_remainder_x
      - .offset:         1300
        .size:           2
        .value_kind:     hidden_remainder_y
      - .offset:         1302
        .size:           2
        .value_kind:     hidden_remainder_z
      - .offset:         1320
        .size:           8
        .value_kind:     hidden_global_offset_x
      - .offset:         1328
        .size:           8
        .value_kind:     hidden_global_offset_y
      - .offset:         1336
        .size:           8
        .value_kind:     hidden_global_offset_z
      - .offset:         1344
        .size:           2
        .value_kind:     hidden_grid_dims
      - .offset:         1400
        .size:           4
        .value_kind:     hidden_dynamic_lds_size
    .group_segment_fixed_size: 0
    .kernarg_segment_align: 8
    .kernarg_segment_size: 1536
    .language:       OpenCL C
    .language_version:
      - 2
      - 0
    .max_flat_workgroup_size: 512
    .name:           _ZN2at4cuda17kernelHistogram1DIfflLi1ELi2ELin1ELNS0_23CUDAHistogramMemoryTypeE0EZNS0_21CUDA_tensor_histogramIffLb0EEEbNS_6TensorES4_S4_lNS_14AccumulateTypeIT0_Lb1EE4typeES8_NS0_13TensorArgTypeES9_S9_EUllE0_EEvNS0_6detail10TensorInfoIT_T1_EESF_NSC_IKS6_SE_EElS8_S8_SE_T6_
    .private_segment_fixed_size: 0
    .sgpr_count:     45
    .sgpr_spill_count: 0
    .symbol:         _ZN2at4cuda17kernelHistogram1DIfflLi1ELi2ELin1ELNS0_23CUDAHistogramMemoryTypeE0EZNS0_21CUDA_tensor_histogramIffLb0EEEbNS_6TensorES4_S4_lNS_14AccumulateTypeIT0_Lb1EE4typeES8_NS0_13TensorArgTypeES9_S9_EUllE0_EEvNS0_6detail10TensorInfoIT_T1_EESF_NSC_IKS6_SE_EElS8_S8_SE_T6_.kd
    .uniform_work_group_size: 1
    .uses_dynamic_stack: false
    .vgpr_count:     25
    .vgpr_spill_count: 0
    .wavefront_size: 64
  - .agpr_count:     0
    .args:
      - .offset:         0
        .size:           416
        .value_kind:     by_value
      - .offset:         416
        .size:           416
        .value_kind:     by_value
      - .offset:         832
        .size:           416
        .value_kind:     by_value
      - .offset:         1248
        .size:           8
        .value_kind:     by_value
      - .offset:         1256
        .size:           4
        .value_kind:     by_value
      - .offset:         1260
        .size:           4
        .value_kind:     by_value
      - .offset:         1264
        .size:           8
        .value_kind:     by_value
      - .offset:         1272
        .size:           1
        .value_kind:     by_value
      - .offset:         1280
        .size:           4
        .value_kind:     hidden_block_count_x
      - .offset:         1284
        .size:           4
        .value_kind:     hidden_block_count_y
      - .offset:         1288
        .size:           4
        .value_kind:     hidden_block_count_z
      - .offset:         1292
        .size:           2
        .value_kind:     hidden_group_size_x
      - .offset:         1294
        .size:           2
        .value_kind:     hidden_group_size_y
      - .offset:         1296
        .size:           2
        .value_kind:     hidden_group_size_z
      - .offset:         1298
        .size:           2
        .value_kind:     hidden_remainder_x
      - .offset:         1300
        .size:           2
        .value_kind:     hidden_remainder_y
      - .offset:         1302
        .size:           2
        .value_kind:     hidden_remainder_z
      - .offset:         1320
        .size:           8
        .value_kind:     hidden_global_offset_x
      - .offset:         1328
        .size:           8
        .value_kind:     hidden_global_offset_y
      - .offset:         1336
        .size:           8
        .value_kind:     hidden_global_offset_z
      - .offset:         1344
        .size:           2
        .value_kind:     hidden_grid_dims
    .group_segment_fixed_size: 0
    .kernarg_segment_align: 8
    .kernarg_segment_size: 1536
    .language:       OpenCL C
    .language_version:
      - 2
      - 0
    .max_flat_workgroup_size: 512
    .name:           _ZN2at4cuda17kernelHistogram1DIfflLi1ELi2ELin1ELNS0_23CUDAHistogramMemoryTypeE1EZNS0_21CUDA_tensor_histogramIffLb0EEEbNS_6TensorES4_S4_lNS_14AccumulateTypeIT0_Lb1EE4typeES8_NS0_13TensorArgTypeES9_S9_EUllE0_EEvNS0_6detail10TensorInfoIT_T1_EESF_NSC_IKS6_SE_EElS8_S8_SE_T6_
    .private_segment_fixed_size: 0
    .sgpr_count:     41
    .sgpr_spill_count: 0
    .symbol:         _ZN2at4cuda17kernelHistogram1DIfflLi1ELi2ELin1ELNS0_23CUDAHistogramMemoryTypeE1EZNS0_21CUDA_tensor_histogramIffLb0EEEbNS_6TensorES4_S4_lNS_14AccumulateTypeIT0_Lb1EE4typeES8_NS0_13TensorArgTypeES9_S9_EUllE0_EEvNS0_6detail10TensorInfoIT_T1_EESF_NSC_IKS6_SE_EElS8_S8_SE_T6_.kd
    .uniform_work_group_size: 1
    .uses_dynamic_stack: false
    .vgpr_count:     21
    .vgpr_spill_count: 0
    .wavefront_size: 64
amdhsa.target:   amdgcn-amd-amdhsa--gfx90a
amdhsa.version:
  - 1
  - 2
...

	.end_amdgpu_metadata
